;; amdgpu-corpus repo=ROCm/rocBLAS kind=compiled arch=gfx1201 opt=O3
	.amdgcn_target "amdgcn-amd-amdhsa--gfx1201"
	.amdhsa_code_object_version 6
	.section	.text._ZL19rocblas_hpmv_kernelILi64ELi16EPK19rocblas_complex_numIfES3_PS1_EvbiT1_T2_llS6_lllS5_T3_llli,"axG",@progbits,_ZL19rocblas_hpmv_kernelILi64ELi16EPK19rocblas_complex_numIfES3_PS1_EvbiT1_T2_llS6_lllS5_T3_llli,comdat
	.globl	_ZL19rocblas_hpmv_kernelILi64ELi16EPK19rocblas_complex_numIfES3_PS1_EvbiT1_T2_llS6_lllS5_T3_llli ; -- Begin function _ZL19rocblas_hpmv_kernelILi64ELi16EPK19rocblas_complex_numIfES3_PS1_EvbiT1_T2_llS6_lllS5_T3_llli
	.p2align	8
	.type	_ZL19rocblas_hpmv_kernelILi64ELi16EPK19rocblas_complex_numIfES3_PS1_EvbiT1_T2_llS6_lllS5_T3_llli,@function
_ZL19rocblas_hpmv_kernelILi64ELi16EPK19rocblas_complex_numIfES3_PS1_EvbiT1_T2_llS6_lllS5_T3_llli: ; @_ZL19rocblas_hpmv_kernelILi64ELi16EPK19rocblas_complex_numIfES3_PS1_EvbiT1_T2_llS6_lllS5_T3_llli
; %bb.0:
	s_clause 0x1
	s_load_b512 s[4:19], s[0:1], 0x8
	s_load_b256 s[20:27], s[0:1], 0x48
	s_wait_kmcnt 0x0
	s_load_b64 s[28:29], s[4:5], 0x0
	s_load_b64 s[20:21], s[20:21], 0x0
	s_wait_kmcnt 0x0
	s_cmp_neq_f32 s28, 0
	s_cselect_b32 s2, -1, 0
	s_cmp_neq_f32 s29, 0
	s_cselect_b32 s3, -1, 0
	s_delay_alu instid0(SALU_CYCLE_1) | instskip(NEXT) | instid1(SALU_CYCLE_1)
	s_or_b32 s2, s2, s3
	s_and_b32 vcc_lo, exec_lo, s2
	s_mov_b32 s2, -1
	s_cbranch_vccnz .LBB0_2
; %bb.1:
	s_cmp_neq_f32 s20, 1.0
	s_cselect_b32 s2, -1, 0
	s_cmp_neq_f32 s21, 0
	s_cselect_b32 s3, -1, 0
	s_delay_alu instid0(SALU_CYCLE_1)
	s_or_b32 s2, s2, s3
.LBB0_2:
	s_delay_alu instid0(SALU_CYCLE_1)
	s_and_not1_b32 vcc_lo, exec_lo, s2
	s_cbranch_vccnz .LBB0_27
; %bb.3:
	s_load_b32 s33, s[0:1], 0x70
	s_lshr_b32 s30, ttmp7, 16
	s_wait_kmcnt 0x0
	s_cmp_ge_u32 s30, s33
	s_cbranch_scc1 .LBB0_27
; %bb.4:
	v_bfe_u32 v10, v0, 10, 10
	v_and_b32_e32 v11, 0x3ff, v0
	v_and_b32_e32 v14, 63, v0
	s_clause 0x1
	s_load_b64 s[34:35], s[0:1], 0x0
	s_load_b64 s[36:37], s[0:1], 0x68
	v_add_nc_u32_e32 v1, ttmp9, v10
	s_lshl_b64 s[0:1], s[8:9], 3
	s_lshl_b64 s[2:3], s[24:25], 3
	s_wait_alu 0xfffe
	s_add_nc_u64 s[6:7], s[6:7], s[0:1]
	s_add_nc_u64 s[8:9], s[22:23], s[2:3]
	v_lshl_add_u32 v0, v1, 6, v11
	s_mov_b32 s31, 0
	s_delay_alu instid0(VALU_DEP_1) | instskip(SKIP_2) | instid1(VALU_DEP_2)
	v_mad_co_u64_u32 v[4:5], null, s26, v0, 0
	v_ashrrev_i32_e32 v1, 31, v0
	v_mul_lo_u32 v16, s27, v0
	v_mul_lo_u32 v7, s26, v1
	s_delay_alu instid0(VALU_DEP_4)
	v_mov_b32_e32 v6, v4
	v_lshl_add_u32 v15, v10, 6, v11
	s_wait_kmcnt 0x0
	s_bitcmp1_b32 s34, 0
	v_cmp_gt_i32_e32 vcc_lo, s35, v0
	s_cselect_b32 s0, -1, 0
	s_or_b32 s1, s28, s29
	v_lshrrev_b32_e32 v12, 6, v15
	s_wait_alu 0xfffe
	s_bitset0_b32 s1, 31
	v_cmp_gt_u32_e64 s3, 64, v15
	s_wait_alu 0xfffe
	s_cmp_eq_u32 s1, 0
	v_add3_u32 v7, v5, v7, v16
	v_mad_co_u64_u32 v[2:3], null, s16, v12, 0
	s_cselect_b32 s22, -1, 0
	s_cmp_neq_f32 s20, 0
	v_add_nc_u32_e32 v5, v5, v16
	v_cmp_gt_i32_e64 s1, s35, v12
	s_cselect_b32 s26, -1, 0
	v_mov_b32_e32 v1, v3
	v_lshl_or_b32 v13, ttmp9, 6, v14
	s_cmp_neq_f32 s21, 0
	v_lshlrev_b64_e32 v[4:5], 3, v[4:5]
	s_delay_alu instid0(VALU_DEP_3)
	v_mad_co_u64_u32 v[8:9], null, s17, v12, v[1:2]
	v_and_or_b32 v1, 0x1ffc0, v15, v14
	v_lshlrev_b32_e32 v10, 9, v10
	v_cmp_gt_i32_e64 s2, s35, v13
	s_cselect_b32 s27, -1, 0
	s_lshl_b32 s4, s35, 1
	v_dual_mov_b32 v1, 0 :: v_dual_lshlrev_b32 v14, 3, v1
	v_mov_b32_e32 v3, v8
	s_or_b32 s23, s4, 1
	s_ashr_i32 s5, s35, 31
	s_mov_b32 s4, s35
	s_and_b32 s24, s3, s2
	v_lshlrev_b64_e32 v[2:3], 3, v[2:3]
	v_cmp_gt_i64_e64 s3, s[4:5], v[0:1]
	s_lshl_b64 s[4:5], s[14:15], 3
	v_lshlrev_b32_e32 v9, 3, v11
	s_wait_alu 0xfffe
	s_add_nc_u64 s[4:5], s[12:13], s[4:5]
	s_and_b32 s25, s24, vcc_lo
	s_wait_alu 0xfffe
	v_add_co_u32 v0, s4, s4, v2
	s_wait_alu 0xf1ff
	v_add_co_ci_u32_e64 v1, null, s5, v3, s4
	v_lshlrev_b64_e32 v[2:3], 3, v[6:7]
	s_delay_alu instid0(VALU_DEP_3) | instskip(SKIP_1) | instid1(VALU_DEP_4)
	v_add_co_u32 v0, vcc_lo, v0, 4
	v_add_nc_u32_e32 v15, v9, v10
	v_add_co_ci_u32_e64 v1, null, 0, v1, vcc_lo
	s_or_b32 s26, s26, s27
	s_lshl_b64 s[12:13], s[18:19], 3
	s_lshl_b64 s[14:15], s[16:17], 7
	s_xor_b32 s27, s0, -1
	s_branch .LBB0_8
.LBB0_5:                                ;   in Loop: Header=BB0_8 Depth=1
	v_add_co_u32 v8, vcc_lo, s16, v4
	s_wait_alu 0xfffd
	v_add_co_ci_u32_e64 v9, null, s17, v5, vcc_lo
	global_store_b64 v[8:9], v[6:7], off
.LBB0_6:                                ;   in Loop: Header=BB0_8 Depth=1
	s_wait_alu 0xfffe
	s_or_b32 exec_lo, exec_lo, s4
.LBB0_7:                                ;   in Loop: Header=BB0_8 Depth=1
	s_add_co_i32 s30, s30, 0x10000
	s_wait_alu 0xfffe
	s_cmp_lt_u32 s30, s33
	s_cbranch_scc0 .LBB0_27
.LBB0_8:                                ; =>This Loop Header: Depth=1
                                        ;     Child Loop BB0_19 Depth 2
	s_mul_u64 s[4:5], s[36:37], s[30:31]
	s_and_not1_b32 vcc_lo, exec_lo, s22
	s_wait_alu 0xfffe
	s_lshl_b64 s[4:5], s[4:5], 3
	s_wait_alu 0xfffe
	s_add_nc_u64 s[16:17], s[8:9], s[4:5]
	s_mov_b32 s4, -1
	s_cbranch_vccz .LBB0_10
; %bb.9:                                ;   in Loop: Header=BB0_8 Depth=1
	s_wait_alu 0xfffe
	s_and_not1_b32 vcc_lo, exec_lo, s4
	s_wait_alu 0xfffe
	s_cbranch_vccnz .LBB0_7
	s_branch .LBB0_15
.LBB0_10:                               ;   in Loop: Header=BB0_8 Depth=1
	s_and_saveexec_b32 s4, s25
	s_cbranch_execz .LBB0_14
; %bb.11:                               ;   in Loop: Header=BB0_8 Depth=1
	v_dual_mov_b32 v6, 0 :: v_dual_mov_b32 v7, 0
	s_and_not1_b32 vcc_lo, exec_lo, s26
	s_wait_alu 0xfffe
	s_cbranch_vccnz .LBB0_13
; %bb.12:                               ;   in Loop: Header=BB0_8 Depth=1
	v_add_co_u32 v6, vcc_lo, s16, v2
	s_wait_alu 0xfffd
	v_add_co_ci_u32_e64 v7, null, s17, v3, vcc_lo
	global_load_b64 v[8:9], v[6:7], off
	s_wait_loadcnt 0x0
	v_mul_f32_e32 v7, s20, v9
	s_delay_alu instid0(VALU_DEP_1) | instskip(NEXT) | instid1(VALU_DEP_1)
	v_dual_mul_f32 v6, s21, v9 :: v_dual_fmac_f32 v7, s21, v8
	v_fma_f32 v6, s20, v8, -v6
.LBB0_13:                               ;   in Loop: Header=BB0_8 Depth=1
	v_add_co_u32 v8, vcc_lo, s16, v2
	s_wait_alu 0xfffd
	v_add_co_ci_u32_e64 v9, null, s17, v3, vcc_lo
	global_store_b64 v[8:9], v[6:7], off
.LBB0_14:                               ;   in Loop: Header=BB0_8 Depth=1
	s_wait_alu 0xfffe
	s_or_b32 exec_lo, exec_lo, s4
	s_cbranch_execnz .LBB0_7
.LBB0_15:                               ;   in Loop: Header=BB0_8 Depth=1
	v_dual_mov_b32 v7, 0 :: v_dual_mov_b32 v6, 0
	s_and_saveexec_b32 s34, s1
	s_cbranch_execz .LBB0_23
; %bb.16:                               ;   in Loop: Header=BB0_8 Depth=1
	v_mad_co_u64_u32 v[8:9], null, s12, s30, v[0:1]
	s_mul_u64 s[4:5], s[10:11], s[30:31]
	s_mov_b32 s38, 0
	s_wait_alu 0xfffe
	s_lshl_b64 s[4:5], s[4:5], 3
	s_wait_alu 0xfffe
	s_add_nc_u64 s[18:19], s[6:7], s[4:5]
	v_mov_b32_e32 v6, v9
	s_delay_alu instid0(VALU_DEP_1) | instskip(SKIP_1) | instid1(VALU_DEP_1)
	v_mad_co_u64_u32 v[6:7], null, s13, s30, v[6:7]
	v_dual_mov_b32 v7, 0 :: v_dual_mov_b32 v16, v12
	v_dual_mov_b32 v9, v6 :: v_dual_mov_b32 v6, v7
	s_branch .LBB0_19
.LBB0_17:                               ;   in Loop: Header=BB0_19 Depth=2
	s_wait_alu 0xfffe
	s_or_b32 exec_lo, exec_lo, s5
	global_load_b64 v[18:19], v[8:9], off offset:-4
	global_load_b32 v10, v[10:11], off
	s_wait_loadcnt 0x1
	v_mul_f32_e32 v11, v17, v19
	s_wait_loadcnt 0x0
	v_mul_f32_e32 v19, v10, v19
	s_delay_alu instid0(VALU_DEP_2) | instskip(NEXT) | instid1(VALU_DEP_2)
	v_fma_f32 v10, v10, v18, -v11
	v_fmac_f32_e32 v19, v17, v18
	s_delay_alu instid0(VALU_DEP_1)
	v_dual_add_f32 v6, v6, v10 :: v_dual_add_f32 v7, v7, v19
.LBB0_18:                               ;   in Loop: Header=BB0_19 Depth=2
	s_or_b32 exec_lo, exec_lo, s39
	v_add_nc_u32_e32 v16, 16, v16
	v_add_co_u32 v8, s4, v8, s14
	s_wait_alu 0xf1ff
	v_add_co_ci_u32_e64 v9, null, s15, v9, s4
	s_delay_alu instid0(VALU_DEP_3) | instskip(SKIP_1) | instid1(SALU_CYCLE_1)
	v_cmp_le_i32_e32 vcc_lo, s35, v16
	s_or_b32 s38, vcc_lo, s38
	s_and_not1_b32 exec_lo, exec_lo, s38
	s_cbranch_execz .LBB0_22
.LBB0_19:                               ;   Parent Loop BB0_8 Depth=1
                                        ; =>  This Inner Loop Header: Depth=2
	s_and_saveexec_b32 s39, s2
	s_cbranch_execz .LBB0_18
; %bb.20:                               ;   in Loop: Header=BB0_19 Depth=2
	v_cmp_le_i32_e32 vcc_lo, v13, v16
	v_cmp_ge_i32_e64 s4, v13, v16
	s_or_b32 s5, s27, vcc_lo
	s_or_b32 s4, s0, s4
	s_wait_alu 0xfffe
	s_and_b32 vcc_lo, s5, s4
	s_wait_alu 0xfffe
	v_dual_cndmask_b32 v17, v16, v13 :: v_dual_cndmask_b32 v18, v13, v16
	s_delay_alu instid0(VALU_DEP_1) | instskip(SKIP_1) | instid1(VALU_DEP_1)
	v_sub_nc_u32_e32 v10, s23, v18
	v_add_nc_u32_e32 v11, 1, v18
	v_cndmask_b32_e64 v10, v10, v11, s0
	s_delay_alu instid0(VALU_DEP_1) | instskip(SKIP_1) | instid1(VALU_DEP_1)
	v_mad_co_i64_i32 v[10:11], null, v10, v18, 0
	v_cndmask_b32_e64 v18, v18, 0, s0
	v_sub_nc_u32_e32 v17, v17, v18
	s_delay_alu instid0(VALU_DEP_3) | instskip(NEXT) | instid1(VALU_DEP_2)
	v_lshrrev_b32_e32 v19, 31, v11
	v_ashrrev_i32_e32 v18, 31, v17
	s_delay_alu instid0(VALU_DEP_2) | instskip(SKIP_2) | instid1(VALU_DEP_3)
	v_add_co_u32 v10, s4, v10, v19
	s_wait_alu 0xf1ff
	v_add_co_ci_u32_e64 v11, null, 0, v11, s4
	v_lshlrev_b64_e32 v[17:18], 3, v[17:18]
	s_delay_alu instid0(VALU_DEP_2) | instskip(NEXT) | instid1(VALU_DEP_1)
	v_lshlrev_b64_e32 v[10:11], 2, v[10:11]
	v_and_b32_e32 v10, -8, v10
	s_delay_alu instid0(VALU_DEP_1) | instskip(SKIP_1) | instid1(VALU_DEP_3)
	v_add_co_u32 v10, s4, s18, v10
	s_wait_alu 0xf1ff
	v_add_co_ci_u32_e64 v11, null, s19, v11, s4
	s_delay_alu instid0(VALU_DEP_2) | instskip(SKIP_1) | instid1(VALU_DEP_2)
	v_add_co_u32 v10, s5, v10, v17
	s_wait_alu 0xf1ff
	v_add_co_ci_u32_e64 v11, null, v11, v18, s5
	v_mov_b32_e32 v17, 0
	s_mov_b32 s5, exec_lo
	v_cmpx_ne_u32_e64 v13, v16
	s_cbranch_execz .LBB0_17
; %bb.21:                               ;   in Loop: Header=BB0_19 Depth=2
	global_load_b32 v17, v[10:11], off offset:4
	s_wait_loadcnt 0x0
	v_cndmask_b32_e64 v17, -v17, v17, vcc_lo
	s_branch .LBB0_17
.LBB0_22:                               ;   in Loop: Header=BB0_8 Depth=1
	s_or_b32 exec_lo, exec_lo, s38
.LBB0_23:                               ;   in Loop: Header=BB0_8 Depth=1
	s_wait_alu 0xfffe
	s_or_b32 exec_lo, exec_lo, s34
	ds_store_b64 v14, v[6:7]
	s_wait_storecnt_dscnt 0x0
	s_barrier_signal -1
	s_barrier_wait -1
	global_inv scope:SCOPE_SE
	s_and_saveexec_b32 s4, s24
	s_cbranch_execz .LBB0_6
; %bb.24:                               ;   in Loop: Header=BB0_8 Depth=1
	ds_load_2addr_stride64_b64 v[6:9], v15 offset1:1
	ds_load_2addr_stride64_b64 v[16:19], v15 offset0:2 offset1:3
	ds_load_2addr_stride64_b64 v[20:23], v15 offset0:4 offset1:5
	s_wait_dscnt 0x2
	v_dual_add_f32 v10, v6, v8 :: v_dual_add_f32 v11, v7, v9
	ds_load_2addr_stride64_b64 v[6:9], v15 offset0:6 offset1:7
	s_wait_dscnt 0x2
	v_dual_add_f32 v10, v10, v16 :: v_dual_add_f32 v11, v11, v17
	s_delay_alu instid0(VALU_DEP_1) | instskip(SKIP_3) | instid1(VALU_DEP_1)
	v_dual_add_f32 v10, v10, v18 :: v_dual_add_f32 v11, v11, v19
	ds_load_2addr_stride64_b64 v[16:19], v15 offset0:8 offset1:9
	s_wait_dscnt 0x2
	v_dual_add_f32 v10, v10, v20 :: v_dual_add_f32 v11, v11, v21
	v_dual_add_f32 v10, v10, v22 :: v_dual_add_f32 v11, v11, v23
	ds_load_2addr_stride64_b64 v[20:23], v15 offset0:10 offset1:11
	s_wait_dscnt 0x2
	v_dual_add_f32 v6, v10, v6 :: v_dual_add_f32 v7, v11, v7
	s_delay_alu instid0(VALU_DEP_1) | instskip(SKIP_3) | instid1(VALU_DEP_1)
	v_dual_add_f32 v10, v6, v8 :: v_dual_add_f32 v11, v7, v9
	ds_load_2addr_stride64_b64 v[6:9], v15 offset0:12 offset1:13
	s_wait_dscnt 0x2
	v_dual_add_f32 v10, v10, v16 :: v_dual_add_f32 v11, v11, v17
	v_dual_add_f32 v10, v10, v18 :: v_dual_add_f32 v11, v11, v19
	ds_load_2addr_stride64_b64 v[16:19], v15 offset0:14 offset1:15
	s_wait_dscnt 0x2
	v_dual_add_f32 v20, v10, v20 :: v_dual_add_f32 v21, v11, v21
	ds_store_b64 v15, v[10:11]
	ds_store_b64 v15, v[20:21]
	v_dual_add_f32 v22, v20, v22 :: v_dual_add_f32 v23, v21, v23
	s_wait_dscnt 0x3
	s_delay_alu instid0(VALU_DEP_1) | instskip(NEXT) | instid1(VALU_DEP_1)
	v_dual_add_f32 v6, v22, v6 :: v_dual_add_f32 v7, v23, v7
	v_dual_add_f32 v24, v6, v8 :: v_dual_add_f32 v25, v7, v9
	s_wait_dscnt 0x2
	s_delay_alu instid0(VALU_DEP_1) | instskip(NEXT) | instid1(VALU_DEP_1)
	v_dual_add_f32 v16, v24, v16 :: v_dual_add_f32 v17, v25, v17
	v_dual_add_f32 v8, v16, v18 :: v_dual_add_f32 v9, v17, v19
	ds_store_b64 v15, v[22:23]
	ds_store_b64 v15, v[6:7]
	;; [unrolled: 1-line block ×5, first 2 shown]
	s_and_b32 exec_lo, exec_lo, s3
	s_cbranch_execz .LBB0_6
; %bb.25:                               ;   in Loop: Header=BB0_8 Depth=1
	v_mul_f32_e32 v7, s28, v9
	v_mul_f32_e32 v6, s29, v9
	s_and_not1_b32 vcc_lo, exec_lo, s26
	s_delay_alu instid0(VALU_DEP_2) | instskip(NEXT) | instid1(VALU_DEP_2)
	v_fmac_f32_e32 v7, s29, v8
	v_fma_f32 v6, v8, s28, -v6
	s_wait_alu 0xfffe
	s_cbranch_vccnz .LBB0_5
; %bb.26:                               ;   in Loop: Header=BB0_8 Depth=1
	v_add_co_u32 v8, vcc_lo, s16, v4
	s_wait_alu 0xfffd
	v_add_co_ci_u32_e64 v9, null, s17, v5, vcc_lo
	global_load_b64 v[8:9], v[8:9], off
	s_wait_loadcnt 0x0
	v_mul_f32_e32 v10, s21, v9
	v_mul_f32_e32 v9, s20, v9
	s_delay_alu instid0(VALU_DEP_1) | instskip(NEXT) | instid1(VALU_DEP_3)
	v_fmac_f32_e32 v9, s21, v8
	v_fma_f32 v10, s20, v8, -v10
	s_delay_alu instid0(VALU_DEP_1)
	v_dual_add_f32 v7, v7, v9 :: v_dual_add_f32 v6, v6, v10
	s_branch .LBB0_5
.LBB0_27:
	s_endpgm
	.section	.rodata,"a",@progbits
	.p2align	6, 0x0
	.amdhsa_kernel _ZL19rocblas_hpmv_kernelILi64ELi16EPK19rocblas_complex_numIfES3_PS1_EvbiT1_T2_llS6_lllS5_T3_llli
		.amdhsa_group_segment_fixed_size 8192
		.amdhsa_private_segment_fixed_size 0
		.amdhsa_kernarg_size 116
		.amdhsa_user_sgpr_count 2
		.amdhsa_user_sgpr_dispatch_ptr 0
		.amdhsa_user_sgpr_queue_ptr 0
		.amdhsa_user_sgpr_kernarg_segment_ptr 1
		.amdhsa_user_sgpr_dispatch_id 0
		.amdhsa_user_sgpr_private_segment_size 0
		.amdhsa_wavefront_size32 1
		.amdhsa_uses_dynamic_stack 0
		.amdhsa_enable_private_segment 0
		.amdhsa_system_sgpr_workgroup_id_x 1
		.amdhsa_system_sgpr_workgroup_id_y 0
		.amdhsa_system_sgpr_workgroup_id_z 1
		.amdhsa_system_sgpr_workgroup_info 0
		.amdhsa_system_vgpr_workitem_id 1
		.amdhsa_next_free_vgpr 26
		.amdhsa_next_free_sgpr 40
		.amdhsa_reserve_vcc 1
		.amdhsa_float_round_mode_32 0
		.amdhsa_float_round_mode_16_64 0
		.amdhsa_float_denorm_mode_32 3
		.amdhsa_float_denorm_mode_16_64 3
		.amdhsa_fp16_overflow 0
		.amdhsa_workgroup_processor_mode 1
		.amdhsa_memory_ordered 1
		.amdhsa_forward_progress 1
		.amdhsa_inst_pref_size 14
		.amdhsa_round_robin_scheduling 0
		.amdhsa_exception_fp_ieee_invalid_op 0
		.amdhsa_exception_fp_denorm_src 0
		.amdhsa_exception_fp_ieee_div_zero 0
		.amdhsa_exception_fp_ieee_overflow 0
		.amdhsa_exception_fp_ieee_underflow 0
		.amdhsa_exception_fp_ieee_inexact 0
		.amdhsa_exception_int_div_zero 0
	.end_amdhsa_kernel
	.section	.text._ZL19rocblas_hpmv_kernelILi64ELi16EPK19rocblas_complex_numIfES3_PS1_EvbiT1_T2_llS6_lllS5_T3_llli,"axG",@progbits,_ZL19rocblas_hpmv_kernelILi64ELi16EPK19rocblas_complex_numIfES3_PS1_EvbiT1_T2_llS6_lllS5_T3_llli,comdat
.Lfunc_end0:
	.size	_ZL19rocblas_hpmv_kernelILi64ELi16EPK19rocblas_complex_numIfES3_PS1_EvbiT1_T2_llS6_lllS5_T3_llli, .Lfunc_end0-_ZL19rocblas_hpmv_kernelILi64ELi16EPK19rocblas_complex_numIfES3_PS1_EvbiT1_T2_llS6_lllS5_T3_llli
                                        ; -- End function
	.set _ZL19rocblas_hpmv_kernelILi64ELi16EPK19rocblas_complex_numIfES3_PS1_EvbiT1_T2_llS6_lllS5_T3_llli.num_vgpr, 26
	.set _ZL19rocblas_hpmv_kernelILi64ELi16EPK19rocblas_complex_numIfES3_PS1_EvbiT1_T2_llS6_lllS5_T3_llli.num_agpr, 0
	.set _ZL19rocblas_hpmv_kernelILi64ELi16EPK19rocblas_complex_numIfES3_PS1_EvbiT1_T2_llS6_lllS5_T3_llli.numbered_sgpr, 40
	.set _ZL19rocblas_hpmv_kernelILi64ELi16EPK19rocblas_complex_numIfES3_PS1_EvbiT1_T2_llS6_lllS5_T3_llli.num_named_barrier, 0
	.set _ZL19rocblas_hpmv_kernelILi64ELi16EPK19rocblas_complex_numIfES3_PS1_EvbiT1_T2_llS6_lllS5_T3_llli.private_seg_size, 0
	.set _ZL19rocblas_hpmv_kernelILi64ELi16EPK19rocblas_complex_numIfES3_PS1_EvbiT1_T2_llS6_lllS5_T3_llli.uses_vcc, 1
	.set _ZL19rocblas_hpmv_kernelILi64ELi16EPK19rocblas_complex_numIfES3_PS1_EvbiT1_T2_llS6_lllS5_T3_llli.uses_flat_scratch, 0
	.set _ZL19rocblas_hpmv_kernelILi64ELi16EPK19rocblas_complex_numIfES3_PS1_EvbiT1_T2_llS6_lllS5_T3_llli.has_dyn_sized_stack, 0
	.set _ZL19rocblas_hpmv_kernelILi64ELi16EPK19rocblas_complex_numIfES3_PS1_EvbiT1_T2_llS6_lllS5_T3_llli.has_recursion, 0
	.set _ZL19rocblas_hpmv_kernelILi64ELi16EPK19rocblas_complex_numIfES3_PS1_EvbiT1_T2_llS6_lllS5_T3_llli.has_indirect_call, 0
	.section	.AMDGPU.csdata,"",@progbits
; Kernel info:
; codeLenInByte = 1704
; TotalNumSgprs: 42
; NumVgprs: 26
; ScratchSize: 0
; MemoryBound: 0
; FloatMode: 240
; IeeeMode: 1
; LDSByteSize: 8192 bytes/workgroup (compile time only)
; SGPRBlocks: 0
; VGPRBlocks: 3
; NumSGPRsForWavesPerEU: 42
; NumVGPRsForWavesPerEU: 26
; Occupancy: 16
; WaveLimiterHint : 0
; COMPUTE_PGM_RSRC2:SCRATCH_EN: 0
; COMPUTE_PGM_RSRC2:USER_SGPR: 2
; COMPUTE_PGM_RSRC2:TRAP_HANDLER: 0
; COMPUTE_PGM_RSRC2:TGID_X_EN: 1
; COMPUTE_PGM_RSRC2:TGID_Y_EN: 0
; COMPUTE_PGM_RSRC2:TGID_Z_EN: 1
; COMPUTE_PGM_RSRC2:TIDIG_COMP_CNT: 1
	.section	.text._ZL19rocblas_hpmv_kernelILi64ELi16E19rocblas_complex_numIfEPKS1_PS1_EvbiT1_T2_llS6_lllS5_T3_llli,"axG",@progbits,_ZL19rocblas_hpmv_kernelILi64ELi16E19rocblas_complex_numIfEPKS1_PS1_EvbiT1_T2_llS6_lllS5_T3_llli,comdat
	.globl	_ZL19rocblas_hpmv_kernelILi64ELi16E19rocblas_complex_numIfEPKS1_PS1_EvbiT1_T2_llS6_lllS5_T3_llli ; -- Begin function _ZL19rocblas_hpmv_kernelILi64ELi16E19rocblas_complex_numIfEPKS1_PS1_EvbiT1_T2_llS6_lllS5_T3_llli
	.p2align	8
	.type	_ZL19rocblas_hpmv_kernelILi64ELi16E19rocblas_complex_numIfEPKS1_PS1_EvbiT1_T2_llS6_lllS5_T3_llli,@function
_ZL19rocblas_hpmv_kernelILi64ELi16E19rocblas_complex_numIfEPKS1_PS1_EvbiT1_T2_llS6_lllS5_T3_llli: ; @_ZL19rocblas_hpmv_kernelILi64ELi16E19rocblas_complex_numIfEPKS1_PS1_EvbiT1_T2_llS6_lllS5_T3_llli
; %bb.0:
	s_clause 0x1
	s_load_b128 s[28:31], s[0:1], 0x0
	s_load_b64 s[34:35], s[0:1], 0x48
	s_wait_kmcnt 0x0
	s_cmp_neq_f32 s30, 0
	s_cselect_b32 s2, -1, 0
	s_cmp_neq_f32 s31, 0
	s_cselect_b32 s3, -1, 0
	s_delay_alu instid0(SALU_CYCLE_1) | instskip(NEXT) | instid1(SALU_CYCLE_1)
	s_or_b32 s2, s2, s3
	s_and_b32 vcc_lo, exec_lo, s2
	s_mov_b32 s2, -1
	s_cbranch_vccnz .LBB1_2
; %bb.1:
	s_cmp_neq_f32 s34, 1.0
	s_cselect_b32 s2, -1, 0
	s_cmp_neq_f32 s35, 0
	s_cselect_b32 s3, -1, 0
	s_delay_alu instid0(SALU_CYCLE_1)
	s_or_b32 s2, s2, s3
.LBB1_2:
	s_delay_alu instid0(SALU_CYCLE_1)
	s_and_not1_b32 vcc_lo, exec_lo, s2
	s_cbranch_vccnz .LBB1_27
; %bb.3:
	s_load_b32 s33, s[0:1], 0x70
	s_lshr_b32 s36, ttmp7, 16
	s_wait_kmcnt 0x0
	s_cmp_ge_u32 s36, s33
	s_cbranch_scc1 .LBB1_27
; %bb.4:
	s_clause 0x1
	s_load_b256 s[4:11], s[0:1], 0x10
	s_load_b256 s[12:19], s[0:1], 0x50
	v_bfe_u32 v10, v0, 10, 10
	v_and_b32_e32 v11, 0x3ff, v0
	v_and_b32_e32 v14, 63, v0
	s_load_b256 s[20:27], s[0:1], 0x30
	s_mov_b32 s37, 0
	v_add_nc_u32_e32 v1, ttmp9, v10
	s_delay_alu instid0(VALU_DEP_1) | instskip(NEXT) | instid1(VALU_DEP_1)
	v_lshl_add_u32 v0, v1, 6, v11
	v_ashrrev_i32_e32 v1, 31, v0
	v_cmp_gt_i32_e32 vcc_lo, s29, v0
	s_wait_kmcnt 0x0
	s_lshl_b64 s[2:3], s[6:7], 3
	v_mad_co_u64_u32 v[4:5], null, s16, v0, 0
	v_mul_lo_u32 v1, s16, v1
	v_mul_lo_u32 v16, s17, v0
	s_lshl_b64 s[14:15], s[14:15], 3
	s_bitcmp1_b32 s28, 0
	s_add_nc_u64 s[12:13], s[12:13], s[14:15]
	s_cselect_b32 s0, -1, 0
	s_delay_alu instid0(VALU_DEP_3)
	v_mov_b32_e32 v6, v4
	v_lshl_add_u32 v15, v10, 6, v11
	s_or_b32 s1, s30, s31
	v_add3_u32 v7, v5, v1, v16
	s_wait_alu 0xfffe
	s_bitset0_b32 s1, 31
	s_add_nc_u64 s[6:7], s[4:5], s[2:3]
	v_lshrrev_b32_e32 v13, 6, v15
	s_wait_alu 0xfffe
	s_cmp_eq_u32 s1, 0
	v_cmp_gt_u32_e64 s3, 64, v15
	s_cselect_b32 s26, -1, 0
	s_cmp_neq_f32 s34, 0
	v_mad_co_u64_u32 v[2:3], null, s22, v13, 0
	v_add_nc_u32_e32 v5, v5, v16
	s_cselect_b32 s14, -1, 0
	s_cmp_neq_f32 s35, 0
	v_cmp_gt_i32_e64 s1, s29, v13
	s_delay_alu instid0(VALU_DEP_2) | instskip(NEXT) | instid1(VALU_DEP_4)
	v_lshlrev_b64_e32 v[4:5], 3, v[4:5]
	v_mov_b32_e32 v1, v3
	v_lshl_or_b32 v12, ttmp9, 6, v14
	s_cselect_b32 s15, -1, 0
	s_lshl_b32 s4, s29, 1
	s_ashr_i32 s5, s29, 31
	v_mad_co_u64_u32 v[8:9], null, s23, v13, v[1:2]
	v_and_or_b32 v1, 0x1ffc0, v15, v14
	v_lshlrev_b32_e32 v10, 9, v10
	v_cmp_gt_i32_e64 s2, s29, v12
	s_or_b32 s27, s4, 1
	s_mov_b32 s4, s29
	v_dual_mov_b32 v1, 0 :: v_dual_lshlrev_b32 v14, 3, v1
	v_mov_b32_e32 v3, v8
	s_and_b32 s28, s3, s2
	v_lshlrev_b32_e32 v9, 3, v11
	s_wait_alu 0xfffe
	s_and_b32 s38, s28, vcc_lo
	v_cmp_gt_i64_e64 s3, s[4:5], v[0:1]
	v_lshlrev_b64_e32 v[2:3], 3, v[2:3]
	s_lshl_b64 s[4:5], s[20:21], 3
	v_add_nc_u32_e32 v15, v9, v10
	s_wait_alu 0xfffe
	s_add_nc_u64 s[4:5], s[10:11], s[4:5]
	s_or_b32 s39, s14, s15
	s_lshl_b64 s[10:11], s[24:25], 3
	s_wait_alu 0xfffe
	v_add_co_u32 v0, s4, s4, v2
	s_wait_alu 0xf1ff
	v_add_co_ci_u32_e64 v1, null, s5, v3, s4
	v_lshlrev_b64_e32 v[2:3], 3, v[6:7]
	s_delay_alu instid0(VALU_DEP_3) | instskip(NEXT) | instid1(VALU_DEP_1)
	v_add_co_u32 v0, vcc_lo, v0, 4
	v_add_co_ci_u32_e64 v1, null, 0, v1, vcc_lo
	s_lshl_b64 s[14:15], s[22:23], 7
	s_xor_b32 s22, s0, -1
	s_branch .LBB1_8
.LBB1_5:                                ;   in Loop: Header=BB1_8 Depth=1
	v_add_co_u32 v8, vcc_lo, s16, v4
	s_wait_alu 0xfffd
	v_add_co_ci_u32_e64 v9, null, s17, v5, vcc_lo
	global_store_b64 v[8:9], v[6:7], off
.LBB1_6:                                ;   in Loop: Header=BB1_8 Depth=1
	s_wait_alu 0xfffe
	s_or_b32 exec_lo, exec_lo, s4
.LBB1_7:                                ;   in Loop: Header=BB1_8 Depth=1
	s_add_co_i32 s36, s36, 0x10000
	s_wait_alu 0xfffe
	s_cmp_lt_u32 s36, s33
	s_cbranch_scc0 .LBB1_27
.LBB1_8:                                ; =>This Loop Header: Depth=1
                                        ;     Child Loop BB1_19 Depth 2
	s_mul_u64 s[4:5], s[18:19], s[36:37]
	s_and_not1_b32 vcc_lo, exec_lo, s26
	s_wait_alu 0xfffe
	s_lshl_b64 s[4:5], s[4:5], 3
	s_wait_alu 0xfffe
	s_add_nc_u64 s[16:17], s[12:13], s[4:5]
	s_mov_b32 s4, -1
	s_cbranch_vccz .LBB1_10
; %bb.9:                                ;   in Loop: Header=BB1_8 Depth=1
	s_wait_alu 0xfffe
	s_and_not1_b32 vcc_lo, exec_lo, s4
	s_wait_alu 0xfffe
	s_cbranch_vccnz .LBB1_7
	s_branch .LBB1_15
.LBB1_10:                               ;   in Loop: Header=BB1_8 Depth=1
	s_and_saveexec_b32 s4, s38
	s_cbranch_execz .LBB1_14
; %bb.11:                               ;   in Loop: Header=BB1_8 Depth=1
	v_dual_mov_b32 v6, 0 :: v_dual_mov_b32 v7, 0
	s_and_not1_b32 vcc_lo, exec_lo, s39
	s_wait_alu 0xfffe
	s_cbranch_vccnz .LBB1_13
; %bb.12:                               ;   in Loop: Header=BB1_8 Depth=1
	v_add_co_u32 v6, vcc_lo, s16, v2
	s_wait_alu 0xfffd
	v_add_co_ci_u32_e64 v7, null, s17, v3, vcc_lo
	global_load_b64 v[8:9], v[6:7], off
	s_wait_loadcnt 0x0
	v_mul_f32_e32 v7, s34, v9
	s_delay_alu instid0(VALU_DEP_1) | instskip(NEXT) | instid1(VALU_DEP_1)
	v_dual_mul_f32 v6, s35, v9 :: v_dual_fmac_f32 v7, s35, v8
	v_fma_f32 v6, s34, v8, -v6
.LBB1_13:                               ;   in Loop: Header=BB1_8 Depth=1
	v_add_co_u32 v8, vcc_lo, s16, v2
	s_wait_alu 0xfffd
	v_add_co_ci_u32_e64 v9, null, s17, v3, vcc_lo
	global_store_b64 v[8:9], v[6:7], off
.LBB1_14:                               ;   in Loop: Header=BB1_8 Depth=1
	s_wait_alu 0xfffe
	s_or_b32 exec_lo, exec_lo, s4
	s_cbranch_execnz .LBB1_7
.LBB1_15:                               ;   in Loop: Header=BB1_8 Depth=1
	v_dual_mov_b32 v7, 0 :: v_dual_mov_b32 v6, 0
	s_and_saveexec_b32 s23, s1
	s_cbranch_execz .LBB1_23
; %bb.16:                               ;   in Loop: Header=BB1_8 Depth=1
	v_mad_co_u64_u32 v[8:9], null, s10, s36, v[0:1]
	s_mul_u64 s[4:5], s[8:9], s[36:37]
	s_mov_b32 s24, 0
	s_wait_alu 0xfffe
	s_lshl_b64 s[4:5], s[4:5], 3
	s_wait_alu 0xfffe
	s_add_nc_u64 s[20:21], s[6:7], s[4:5]
	v_mov_b32_e32 v6, v9
	s_delay_alu instid0(VALU_DEP_1) | instskip(SKIP_1) | instid1(VALU_DEP_1)
	v_mad_co_u64_u32 v[6:7], null, s11, s36, v[6:7]
	v_dual_mov_b32 v7, 0 :: v_dual_mov_b32 v16, v13
	v_dual_mov_b32 v9, v6 :: v_dual_mov_b32 v6, v7
	s_branch .LBB1_19
.LBB1_17:                               ;   in Loop: Header=BB1_19 Depth=2
	s_wait_alu 0xfffe
	s_or_b32 exec_lo, exec_lo, s5
	global_load_b64 v[18:19], v[8:9], off offset:-4
	global_load_b32 v10, v[10:11], off
	s_wait_loadcnt 0x1
	v_mul_f32_e32 v11, v17, v19
	s_wait_loadcnt 0x0
	v_mul_f32_e32 v19, v10, v19
	s_delay_alu instid0(VALU_DEP_2) | instskip(NEXT) | instid1(VALU_DEP_2)
	v_fma_f32 v10, v10, v18, -v11
	v_fmac_f32_e32 v19, v17, v18
	s_delay_alu instid0(VALU_DEP_1)
	v_dual_add_f32 v6, v6, v10 :: v_dual_add_f32 v7, v7, v19
.LBB1_18:                               ;   in Loop: Header=BB1_19 Depth=2
	s_or_b32 exec_lo, exec_lo, s25
	v_add_nc_u32_e32 v16, 16, v16
	v_add_co_u32 v8, s4, v8, s14
	s_wait_alu 0xf1ff
	v_add_co_ci_u32_e64 v9, null, s15, v9, s4
	s_delay_alu instid0(VALU_DEP_3) | instskip(SKIP_1) | instid1(SALU_CYCLE_1)
	v_cmp_le_i32_e32 vcc_lo, s29, v16
	s_or_b32 s24, vcc_lo, s24
	s_and_not1_b32 exec_lo, exec_lo, s24
	s_cbranch_execz .LBB1_22
.LBB1_19:                               ;   Parent Loop BB1_8 Depth=1
                                        ; =>  This Inner Loop Header: Depth=2
	s_and_saveexec_b32 s25, s2
	s_cbranch_execz .LBB1_18
; %bb.20:                               ;   in Loop: Header=BB1_19 Depth=2
	v_cmp_le_i32_e32 vcc_lo, v12, v16
	v_cmp_ge_i32_e64 s4, v12, v16
	s_or_b32 s5, s22, vcc_lo
	s_or_b32 s4, s0, s4
	s_wait_alu 0xfffe
	s_and_b32 vcc_lo, s5, s4
	s_wait_alu 0xfffe
	v_cndmask_b32_e32 v18, v12, v16, vcc_lo
	s_delay_alu instid0(VALU_DEP_1) | instskip(SKIP_1) | instid1(VALU_DEP_1)
	v_sub_nc_u32_e32 v10, s27, v18
	v_add_nc_u32_e32 v11, 1, v18
	v_cndmask_b32_e64 v10, v10, v11, s0
	s_delay_alu instid0(VALU_DEP_1) | instskip(SKIP_1) | instid1(VALU_DEP_2)
	v_mad_co_i64_i32 v[10:11], null, v10, v18, 0
	v_cndmask_b32_e64 v18, v18, 0, s0
	v_lshrrev_b32_e32 v19, 31, v11
	s_delay_alu instid0(VALU_DEP_1) | instskip(SKIP_2) | instid1(VALU_DEP_1)
	v_add_co_u32 v10, s4, v10, v19
	s_wait_alu 0xf1ff
	v_add_co_ci_u32_e64 v11, null, 0, v11, s4
	v_lshlrev_b64_e32 v[10:11], 2, v[10:11]
	s_delay_alu instid0(VALU_DEP_1) | instskip(NEXT) | instid1(VALU_DEP_1)
	v_dual_cndmask_b32 v17, v16, v12 :: v_dual_and_b32 v10, -8, v10
	v_sub_nc_u32_e32 v17, v17, v18
	s_delay_alu instid0(VALU_DEP_2) | instskip(NEXT) | instid1(VALU_DEP_2)
	v_add_co_u32 v10, s4, s20, v10
	v_ashrrev_i32_e32 v18, 31, v17
	s_wait_alu 0xf1ff
	v_add_co_ci_u32_e64 v11, null, s21, v11, s4
	s_delay_alu instid0(VALU_DEP_2) | instskip(NEXT) | instid1(VALU_DEP_1)
	v_lshlrev_b64_e32 v[17:18], 3, v[17:18]
	v_add_co_u32 v10, s5, v10, v17
	s_wait_alu 0xf1ff
	s_delay_alu instid0(VALU_DEP_2)
	v_add_co_ci_u32_e64 v11, null, v11, v18, s5
	v_mov_b32_e32 v17, 0
	s_mov_b32 s5, exec_lo
	v_cmpx_ne_u32_e64 v12, v16
	s_cbranch_execz .LBB1_17
; %bb.21:                               ;   in Loop: Header=BB1_19 Depth=2
	global_load_b32 v17, v[10:11], off offset:4
	s_wait_loadcnt 0x0
	v_cndmask_b32_e64 v17, -v17, v17, vcc_lo
	s_branch .LBB1_17
.LBB1_22:                               ;   in Loop: Header=BB1_8 Depth=1
	s_or_b32 exec_lo, exec_lo, s24
.LBB1_23:                               ;   in Loop: Header=BB1_8 Depth=1
	s_wait_alu 0xfffe
	s_or_b32 exec_lo, exec_lo, s23
	ds_store_b64 v14, v[6:7]
	s_wait_storecnt_dscnt 0x0
	s_barrier_signal -1
	s_barrier_wait -1
	global_inv scope:SCOPE_SE
	s_and_saveexec_b32 s4, s28
	s_cbranch_execz .LBB1_6
; %bb.24:                               ;   in Loop: Header=BB1_8 Depth=1
	ds_load_2addr_stride64_b64 v[6:9], v15 offset1:1
	ds_load_2addr_stride64_b64 v[16:19], v15 offset0:2 offset1:3
	ds_load_2addr_stride64_b64 v[20:23], v15 offset0:4 offset1:5
	s_wait_dscnt 0x2
	v_dual_add_f32 v10, v6, v8 :: v_dual_add_f32 v11, v7, v9
	ds_load_2addr_stride64_b64 v[6:9], v15 offset0:6 offset1:7
	s_wait_dscnt 0x2
	v_dual_add_f32 v10, v10, v16 :: v_dual_add_f32 v11, v11, v17
	s_delay_alu instid0(VALU_DEP_1) | instskip(SKIP_3) | instid1(VALU_DEP_1)
	v_dual_add_f32 v10, v10, v18 :: v_dual_add_f32 v11, v11, v19
	ds_load_2addr_stride64_b64 v[16:19], v15 offset0:8 offset1:9
	s_wait_dscnt 0x2
	v_dual_add_f32 v10, v10, v20 :: v_dual_add_f32 v11, v11, v21
	v_dual_add_f32 v10, v10, v22 :: v_dual_add_f32 v11, v11, v23
	ds_load_2addr_stride64_b64 v[20:23], v15 offset0:10 offset1:11
	s_wait_dscnt 0x2
	v_dual_add_f32 v6, v10, v6 :: v_dual_add_f32 v7, v11, v7
	s_delay_alu instid0(VALU_DEP_1) | instskip(SKIP_3) | instid1(VALU_DEP_1)
	v_dual_add_f32 v10, v6, v8 :: v_dual_add_f32 v11, v7, v9
	ds_load_2addr_stride64_b64 v[6:9], v15 offset0:12 offset1:13
	s_wait_dscnt 0x2
	v_dual_add_f32 v10, v10, v16 :: v_dual_add_f32 v11, v11, v17
	v_dual_add_f32 v10, v10, v18 :: v_dual_add_f32 v11, v11, v19
	ds_load_2addr_stride64_b64 v[16:19], v15 offset0:14 offset1:15
	s_wait_dscnt 0x2
	v_dual_add_f32 v20, v10, v20 :: v_dual_add_f32 v21, v11, v21
	ds_store_b64 v15, v[10:11]
	ds_store_b64 v15, v[20:21]
	v_dual_add_f32 v22, v20, v22 :: v_dual_add_f32 v23, v21, v23
	s_wait_dscnt 0x3
	s_delay_alu instid0(VALU_DEP_1) | instskip(NEXT) | instid1(VALU_DEP_1)
	v_dual_add_f32 v6, v22, v6 :: v_dual_add_f32 v7, v23, v7
	v_dual_add_f32 v24, v6, v8 :: v_dual_add_f32 v25, v7, v9
	s_wait_dscnt 0x2
	s_delay_alu instid0(VALU_DEP_1) | instskip(NEXT) | instid1(VALU_DEP_1)
	v_dual_add_f32 v16, v24, v16 :: v_dual_add_f32 v17, v25, v17
	v_dual_add_f32 v8, v16, v18 :: v_dual_add_f32 v9, v17, v19
	ds_store_b64 v15, v[22:23]
	ds_store_b64 v15, v[6:7]
	;; [unrolled: 1-line block ×5, first 2 shown]
	s_and_b32 exec_lo, exec_lo, s3
	s_cbranch_execz .LBB1_6
; %bb.25:                               ;   in Loop: Header=BB1_8 Depth=1
	v_mul_f32_e32 v7, s30, v9
	v_mul_f32_e32 v6, s31, v9
	s_and_not1_b32 vcc_lo, exec_lo, s39
	s_delay_alu instid0(VALU_DEP_2) | instskip(NEXT) | instid1(VALU_DEP_2)
	v_fmac_f32_e32 v7, s31, v8
	v_fma_f32 v6, v8, s30, -v6
	s_wait_alu 0xfffe
	s_cbranch_vccnz .LBB1_5
; %bb.26:                               ;   in Loop: Header=BB1_8 Depth=1
	v_add_co_u32 v8, vcc_lo, s16, v4
	s_wait_alu 0xfffd
	v_add_co_ci_u32_e64 v9, null, s17, v5, vcc_lo
	global_load_b64 v[8:9], v[8:9], off
	s_wait_loadcnt 0x0
	v_mul_f32_e32 v10, s35, v9
	v_mul_f32_e32 v9, s34, v9
	s_delay_alu instid0(VALU_DEP_1) | instskip(NEXT) | instid1(VALU_DEP_3)
	v_fmac_f32_e32 v9, s35, v8
	v_fma_f32 v10, s34, v8, -v10
	s_delay_alu instid0(VALU_DEP_1)
	v_dual_add_f32 v7, v7, v9 :: v_dual_add_f32 v6, v6, v10
	s_branch .LBB1_5
.LBB1_27:
	s_endpgm
	.section	.rodata,"a",@progbits
	.p2align	6, 0x0
	.amdhsa_kernel _ZL19rocblas_hpmv_kernelILi64ELi16E19rocblas_complex_numIfEPKS1_PS1_EvbiT1_T2_llS6_lllS5_T3_llli
		.amdhsa_group_segment_fixed_size 8192
		.amdhsa_private_segment_fixed_size 0
		.amdhsa_kernarg_size 116
		.amdhsa_user_sgpr_count 2
		.amdhsa_user_sgpr_dispatch_ptr 0
		.amdhsa_user_sgpr_queue_ptr 0
		.amdhsa_user_sgpr_kernarg_segment_ptr 1
		.amdhsa_user_sgpr_dispatch_id 0
		.amdhsa_user_sgpr_private_segment_size 0
		.amdhsa_wavefront_size32 1
		.amdhsa_uses_dynamic_stack 0
		.amdhsa_enable_private_segment 0
		.amdhsa_system_sgpr_workgroup_id_x 1
		.amdhsa_system_sgpr_workgroup_id_y 0
		.amdhsa_system_sgpr_workgroup_id_z 1
		.amdhsa_system_sgpr_workgroup_info 0
		.amdhsa_system_vgpr_workitem_id 1
		.amdhsa_next_free_vgpr 26
		.amdhsa_next_free_sgpr 40
		.amdhsa_reserve_vcc 1
		.amdhsa_float_round_mode_32 0
		.amdhsa_float_round_mode_16_64 0
		.amdhsa_float_denorm_mode_32 3
		.amdhsa_float_denorm_mode_16_64 3
		.amdhsa_fp16_overflow 0
		.amdhsa_workgroup_processor_mode 1
		.amdhsa_memory_ordered 1
		.amdhsa_forward_progress 1
		.amdhsa_inst_pref_size 14
		.amdhsa_round_robin_scheduling 0
		.amdhsa_exception_fp_ieee_invalid_op 0
		.amdhsa_exception_fp_denorm_src 0
		.amdhsa_exception_fp_ieee_div_zero 0
		.amdhsa_exception_fp_ieee_overflow 0
		.amdhsa_exception_fp_ieee_underflow 0
		.amdhsa_exception_fp_ieee_inexact 0
		.amdhsa_exception_int_div_zero 0
	.end_amdhsa_kernel
	.section	.text._ZL19rocblas_hpmv_kernelILi64ELi16E19rocblas_complex_numIfEPKS1_PS1_EvbiT1_T2_llS6_lllS5_T3_llli,"axG",@progbits,_ZL19rocblas_hpmv_kernelILi64ELi16E19rocblas_complex_numIfEPKS1_PS1_EvbiT1_T2_llS6_lllS5_T3_llli,comdat
.Lfunc_end1:
	.size	_ZL19rocblas_hpmv_kernelILi64ELi16E19rocblas_complex_numIfEPKS1_PS1_EvbiT1_T2_llS6_lllS5_T3_llli, .Lfunc_end1-_ZL19rocblas_hpmv_kernelILi64ELi16E19rocblas_complex_numIfEPKS1_PS1_EvbiT1_T2_llS6_lllS5_T3_llli
                                        ; -- End function
	.set _ZL19rocblas_hpmv_kernelILi64ELi16E19rocblas_complex_numIfEPKS1_PS1_EvbiT1_T2_llS6_lllS5_T3_llli.num_vgpr, 26
	.set _ZL19rocblas_hpmv_kernelILi64ELi16E19rocblas_complex_numIfEPKS1_PS1_EvbiT1_T2_llS6_lllS5_T3_llli.num_agpr, 0
	.set _ZL19rocblas_hpmv_kernelILi64ELi16E19rocblas_complex_numIfEPKS1_PS1_EvbiT1_T2_llS6_lllS5_T3_llli.numbered_sgpr, 40
	.set _ZL19rocblas_hpmv_kernelILi64ELi16E19rocblas_complex_numIfEPKS1_PS1_EvbiT1_T2_llS6_lllS5_T3_llli.num_named_barrier, 0
	.set _ZL19rocblas_hpmv_kernelILi64ELi16E19rocblas_complex_numIfEPKS1_PS1_EvbiT1_T2_llS6_lllS5_T3_llli.private_seg_size, 0
	.set _ZL19rocblas_hpmv_kernelILi64ELi16E19rocblas_complex_numIfEPKS1_PS1_EvbiT1_T2_llS6_lllS5_T3_llli.uses_vcc, 1
	.set _ZL19rocblas_hpmv_kernelILi64ELi16E19rocblas_complex_numIfEPKS1_PS1_EvbiT1_T2_llS6_lllS5_T3_llli.uses_flat_scratch, 0
	.set _ZL19rocblas_hpmv_kernelILi64ELi16E19rocblas_complex_numIfEPKS1_PS1_EvbiT1_T2_llS6_lllS5_T3_llli.has_dyn_sized_stack, 0
	.set _ZL19rocblas_hpmv_kernelILi64ELi16E19rocblas_complex_numIfEPKS1_PS1_EvbiT1_T2_llS6_lllS5_T3_llli.has_recursion, 0
	.set _ZL19rocblas_hpmv_kernelILi64ELi16E19rocblas_complex_numIfEPKS1_PS1_EvbiT1_T2_llS6_lllS5_T3_llli.has_indirect_call, 0
	.section	.AMDGPU.csdata,"",@progbits
; Kernel info:
; codeLenInByte = 1692
; TotalNumSgprs: 42
; NumVgprs: 26
; ScratchSize: 0
; MemoryBound: 0
; FloatMode: 240
; IeeeMode: 1
; LDSByteSize: 8192 bytes/workgroup (compile time only)
; SGPRBlocks: 0
; VGPRBlocks: 3
; NumSGPRsForWavesPerEU: 42
; NumVGPRsForWavesPerEU: 26
; Occupancy: 16
; WaveLimiterHint : 1
; COMPUTE_PGM_RSRC2:SCRATCH_EN: 0
; COMPUTE_PGM_RSRC2:USER_SGPR: 2
; COMPUTE_PGM_RSRC2:TRAP_HANDLER: 0
; COMPUTE_PGM_RSRC2:TGID_X_EN: 1
; COMPUTE_PGM_RSRC2:TGID_Y_EN: 0
; COMPUTE_PGM_RSRC2:TGID_Z_EN: 1
; COMPUTE_PGM_RSRC2:TIDIG_COMP_CNT: 1
	.section	.text._ZL19rocblas_hpmv_kernelILi64ELi16EPK19rocblas_complex_numIdES3_PS1_EvbiT1_T2_llS6_lllS5_T3_llli,"axG",@progbits,_ZL19rocblas_hpmv_kernelILi64ELi16EPK19rocblas_complex_numIdES3_PS1_EvbiT1_T2_llS6_lllS5_T3_llli,comdat
	.globl	_ZL19rocblas_hpmv_kernelILi64ELi16EPK19rocblas_complex_numIdES3_PS1_EvbiT1_T2_llS6_lllS5_T3_llli ; -- Begin function _ZL19rocblas_hpmv_kernelILi64ELi16EPK19rocblas_complex_numIdES3_PS1_EvbiT1_T2_llS6_lllS5_T3_llli
	.p2align	8
	.type	_ZL19rocblas_hpmv_kernelILi64ELi16EPK19rocblas_complex_numIdES3_PS1_EvbiT1_T2_llS6_lllS5_T3_llli,@function
_ZL19rocblas_hpmv_kernelILi64ELi16EPK19rocblas_complex_numIdES3_PS1_EvbiT1_T2_llS6_lllS5_T3_llli: ; @_ZL19rocblas_hpmv_kernelILi64ELi16EPK19rocblas_complex_numIdES3_PS1_EvbiT1_T2_llS6_lllS5_T3_llli
; %bb.0:
	s_clause 0x1
	s_load_b512 s[4:19], s[0:1], 0x8
	s_load_b256 s[20:27], s[0:1], 0x48
	s_wait_kmcnt 0x0
	s_load_b128 s[28:31], s[4:5], 0x0
	s_load_b128 s[36:39], s[20:21], 0x0
	s_wait_kmcnt 0x0
	v_cmp_neq_f64_e64 s2, s[28:29], 0
	v_cmp_neq_f64_e64 s3, s[30:31], 0
	s_or_b32 s2, s2, s3
	s_mov_b32 s3, -1
	s_and_b32 vcc_lo, exec_lo, s2
	s_cbranch_vccnz .LBB2_2
; %bb.1:
	v_cmp_neq_f64_e64 s3, s[36:37], 1.0
	v_cmp_neq_f64_e64 s4, s[38:39], 0
	s_or_b32 s3, s3, s4
.LBB2_2:
	s_delay_alu instid0(SALU_CYCLE_1)
	s_and_not1_b32 vcc_lo, exec_lo, s3
	s_cbranch_vccnz .LBB2_30
; %bb.3:
	s_load_b32 s33, s[0:1], 0x70
	s_lshr_b32 s20, ttmp7, 16
	s_wait_kmcnt 0x0
	s_cmp_ge_u32 s20, s33
	s_cbranch_scc1 .LBB2_30
; %bb.4:
	v_bfe_u32 v5, v0, 10, 10
	v_and_b32_e32 v6, 0x3ff, v0
	v_and_b32_e32 v7, 63, v0
	s_clause 0x1
	s_load_b64 s[34:35], s[0:1], 0x68
	s_load_b64 s[40:41], s[0:1], 0x0
	s_xor_b32 s42, s2, -1
	v_add_nc_u32_e32 v1, ttmp9, v5
	v_lshl_add_u32 v12, v5, 6, v6
	s_lshl_b64 s[2:3], s[24:25], 4
	v_cmp_neq_f64_e64 s21, s[36:37], 0
	v_cmp_neq_f64_e64 s25, s[38:39], 0
	v_lshl_add_u32 v0, v1, 6, v6
	v_lshrrev_b32_e32 v18, 6, v12
	v_lshl_or_b32 v19, ttmp9, 6, v7
	s_lshl_b64 s[0:1], s[8:9], 4
	s_add_nc_u64 s[8:9], s[22:23], s[2:3]
	v_ashrrev_i32_e32 v1, 31, v0
	v_mul_lo_u32 v13, s27, v0
	v_mad_co_u64_u32 v[8:9], null, s26, v0, 0
	v_mad_co_u64_u32 v[2:3], null, s16, v18, 0
	s_delay_alu instid0(VALU_DEP_4)
	v_mul_lo_u32 v1, s26, v1
	v_cmp_gt_u32_e64 s3, 64, v12
	s_wait_kmcnt 0x0
	s_bitcmp1_b32 s40, 0
	v_cmp_gt_i32_e64 s2, s41, v19
	s_wait_alu 0xfffe
	s_add_nc_u64 s[6:7], s[6:7], s[0:1]
	s_cselect_b32 s0, -1, 0
	s_lshl_b32 s4, s41, 1
	s_ashr_i32 s5, s41, 31
	v_add3_u32 v11, v9, v1, v13
	v_mov_b32_e32 v1, v3
	s_or_b32 s22, s4, 1
	s_mov_b32 s4, s41
	s_and_b32 s23, s3, s2
	v_cmp_gt_i32_e32 vcc_lo, s41, v0
	v_mad_co_u64_u32 v[3:4], null, s17, v18, v[1:2]
	v_and_or_b32 v1, 0x1ffc0, v12, v7
	v_lshlrev_b32_e32 v4, 4, v6
	v_dual_mov_b32 v10, v8 :: v_dual_lshlrev_b32 v5, 10, v5
	s_and_b32 s24, s23, vcc_lo
	s_delay_alu instid0(VALU_DEP_3) | instskip(SKIP_1) | instid1(VALU_DEP_3)
	v_dual_mov_b32 v1, 0 :: v_dual_lshlrev_b32 v20, 4, v1
	v_lshlrev_b64_e32 v[2:3], 4, v[2:3]
	v_lshlrev_b64_e32 v[14:15], 4, v[10:11]
	v_cmp_gt_i32_e64 s1, s41, v18
	v_add_nc_u32_e32 v21, v4, v5
	v_cmp_gt_i64_e64 s3, s[4:5], v[0:1]
	s_lshl_b64 s[4:5], s[14:15], 4
	v_add_nc_u32_e32 v9, v9, v13
	s_wait_alu 0xfffe
	s_add_nc_u64 s[4:5], s[12:13], s[4:5]
	s_lshl_b64 s[12:13], s[18:19], 4
	s_wait_alu 0xfffe
	v_add_co_u32 v0, s4, s4, v2
	s_wait_alu 0xf1ff
	v_add_co_ci_u32_e64 v1, null, s5, v3, s4
	s_or_b32 s25, s21, s25
	v_add_co_u32 v12, vcc_lo, v0, 8
	s_delay_alu instid0(VALU_DEP_1)
	v_add_co_ci_u32_e64 v13, null, 0, v1, vcc_lo
	s_lshl_b64 s[14:15], s[16:17], 8
	s_mov_b32 s21, 0
	s_xor_b32 s26, s0, -1
	s_branch .LBB2_6
.LBB2_5:                                ;   in Loop: Header=BB2_6 Depth=1
	s_wait_alu 0xfffe
	s_or_b32 exec_lo, exec_lo, s4
	s_add_co_i32 s20, s20, 0x10000
	s_wait_alu 0xfffe
	s_cmp_lt_u32 s20, s33
	s_cbranch_scc0 .LBB2_30
.LBB2_6:                                ; =>This Loop Header: Depth=1
                                        ;     Child Loop BB2_17 Depth 2
	s_mul_u64 s[4:5], s[34:35], s[20:21]
	s_and_not1_b32 vcc_lo, exec_lo, s42
	s_wait_alu 0xfffe
	s_lshl_b64 s[4:5], s[4:5], 4
	s_mov_b32 s27, s21
	s_wait_alu 0xfffe
	s_add_nc_u64 s[16:17], s[8:9], s[4:5]
	s_mov_b32 s4, -1
                                        ; implicit-def: $vgpr2_vgpr3
	s_cbranch_vccnz .LBB2_12
; %bb.7:                                ;   in Loop: Header=BB2_6 Depth=1
	s_mov_b32 s4, 0
	s_mov_b32 s27, 0
                                        ; implicit-def: $vgpr2_vgpr3
	s_and_saveexec_b32 s5, s24
	s_cbranch_execz .LBB2_11
; %bb.8:                                ;   in Loop: Header=BB2_6 Depth=1
	v_mov_b32_e32 v2, 0
	v_dual_mov_b32 v3, 0 :: v_dual_mov_b32 v0, 0
	v_mov_b32_e32 v1, 0
	s_and_not1_b32 vcc_lo, exec_lo, s25
	s_wait_alu 0xfffe
	s_cbranch_vccnz .LBB2_10
; %bb.9:                                ;   in Loop: Header=BB2_6 Depth=1
	v_add_co_u32 v0, vcc_lo, s16, v14
	s_wait_alu 0xfffd
	v_add_co_ci_u32_e64 v1, null, s17, v15, vcc_lo
	global_load_b128 v[2:5], v[0:1], off
	s_wait_loadcnt 0x0
	v_mul_f64_e32 v[0:1], s[38:39], v[4:5]
	v_mul_f64_e32 v[4:5], s[36:37], v[4:5]
	s_delay_alu instid0(VALU_DEP_2) | instskip(NEXT) | instid1(VALU_DEP_2)
	v_fma_f64 v[0:1], s[36:37], v[2:3], -v[0:1]
	v_fma_f64 v[2:3], s[38:39], v[2:3], v[4:5]
.LBB2_10:                               ;   in Loop: Header=BB2_6 Depth=1
	s_mov_b32 s27, exec_lo
.LBB2_11:                               ;   in Loop: Header=BB2_6 Depth=1
	s_wait_alu 0xfffe
	s_or_b32 exec_lo, exec_lo, s5
.LBB2_12:                               ;   in Loop: Header=BB2_6 Depth=1
	s_wait_alu 0xfffe
	s_and_b32 vcc_lo, exec_lo, s4
	s_wait_alu 0xfffe
	s_cbranch_vccz .LBB2_20
; %bb.13:                               ;   in Loop: Header=BB2_6 Depth=1
	v_mov_b32_e32 v2, 0
	v_dual_mov_b32 v3, 0 :: v_dual_mov_b32 v0, 0
	v_mov_b32_e32 v1, 0
	s_and_saveexec_b32 s40, s1
	s_cbranch_execz .LBB2_22
; %bb.14:                               ;   in Loop: Header=BB2_6 Depth=1
	v_mad_co_u64_u32 v[4:5], null, s12, s20, v[12:13]
	v_mov_b32_e32 v2, 0
	s_mul_u64 s[4:5], s[10:11], s[20:21]
	s_mov_b32 s43, 0
	s_wait_alu 0xfffe
	s_lshl_b64 s[4:5], s[4:5], 4
	v_dual_mov_b32 v3, 0 :: v_dual_mov_b32 v22, v18
	s_delay_alu instid0(VALU_DEP_3) | instskip(SKIP_2) | instid1(VALU_DEP_1)
	v_mov_b32_e32 v0, v5
	s_wait_alu 0xfffe
	s_add_nc_u64 s[18:19], s[6:7], s[4:5]
	v_mad_co_u64_u32 v[0:1], null, s13, s20, v[0:1]
	s_delay_alu instid0(VALU_DEP_1)
	v_dual_mov_b32 v5, v0 :: v_dual_mov_b32 v0, v2
	v_mov_b32_e32 v1, v3
	s_branch .LBB2_17
.LBB2_15:                               ;   in Loop: Header=BB2_17 Depth=2
	s_wait_alu 0xfffe
	s_or_b32 exec_lo, exec_lo, s5
	global_load_b128 v[23:26], v[4:5], off offset:-8
	global_load_b64 v[16:17], v[16:17], off
	s_wait_loadcnt 0x1
	v_mul_f64_e32 v[27:28], v[6:7], v[25:26]
	s_wait_loadcnt 0x0
	v_mul_f64_e32 v[25:26], v[16:17], v[25:26]
	s_delay_alu instid0(VALU_DEP_2) | instskip(NEXT) | instid1(VALU_DEP_2)
	v_fma_f64 v[16:17], v[16:17], v[23:24], -v[27:28]
	v_fma_f64 v[6:7], v[6:7], v[23:24], v[25:26]
	s_delay_alu instid0(VALU_DEP_2) | instskip(NEXT) | instid1(VALU_DEP_2)
	v_add_f64_e32 v[0:1], v[0:1], v[16:17]
	v_add_f64_e32 v[2:3], v[2:3], v[6:7]
.LBB2_16:                               ;   in Loop: Header=BB2_17 Depth=2
	s_or_b32 exec_lo, exec_lo, s44
	v_add_nc_u32_e32 v22, 16, v22
	v_add_co_u32 v4, s4, v4, s14
	s_wait_alu 0xf1ff
	v_add_co_ci_u32_e64 v5, null, s15, v5, s4
	s_delay_alu instid0(VALU_DEP_3) | instskip(SKIP_1) | instid1(SALU_CYCLE_1)
	v_cmp_le_i32_e32 vcc_lo, s41, v22
	s_or_b32 s43, vcc_lo, s43
	s_and_not1_b32 exec_lo, exec_lo, s43
	s_cbranch_execz .LBB2_21
.LBB2_17:                               ;   Parent Loop BB2_6 Depth=1
                                        ; =>  This Inner Loop Header: Depth=2
	s_and_saveexec_b32 s44, s2
	s_cbranch_execz .LBB2_16
; %bb.18:                               ;   in Loop: Header=BB2_17 Depth=2
	v_cmp_le_i32_e32 vcc_lo, v19, v22
	v_cmp_ge_i32_e64 s4, v19, v22
	s_or_b32 s5, s26, vcc_lo
	s_or_b32 s4, s0, s4
	s_wait_alu 0xfffe
	s_and_b32 vcc_lo, s5, s4
	s_wait_alu 0xfffe
	v_dual_cndmask_b32 v16, v22, v19 :: v_dual_cndmask_b32 v17, v19, v22
	s_delay_alu instid0(VALU_DEP_1) | instskip(SKIP_1) | instid1(VALU_DEP_1)
	v_sub_nc_u32_e32 v6, s22, v17
	v_add_nc_u32_e32 v7, 1, v17
	v_cndmask_b32_e64 v6, v6, v7, s0
	s_delay_alu instid0(VALU_DEP_1) | instskip(SKIP_1) | instid1(VALU_DEP_1)
	v_mad_co_i64_i32 v[6:7], null, v6, v17, 0
	v_cndmask_b32_e64 v17, v17, 0, s0
	v_sub_nc_u32_e32 v16, v16, v17
	s_delay_alu instid0(VALU_DEP_3) | instskip(NEXT) | instid1(VALU_DEP_2)
	v_lshrrev_b32_e32 v23, 31, v7
	v_ashrrev_i32_e32 v17, 31, v16
	s_delay_alu instid0(VALU_DEP_2) | instskip(SKIP_2) | instid1(VALU_DEP_3)
	v_add_co_u32 v6, s4, v6, v23
	s_wait_alu 0xf1ff
	v_add_co_ci_u32_e64 v7, null, 0, v7, s4
	v_lshlrev_b64_e32 v[16:17], 4, v[16:17]
	s_delay_alu instid0(VALU_DEP_2) | instskip(NEXT) | instid1(VALU_DEP_1)
	v_lshlrev_b64_e32 v[6:7], 3, v[6:7]
	v_and_b32_e32 v6, -16, v6
	s_delay_alu instid0(VALU_DEP_1) | instskip(SKIP_1) | instid1(VALU_DEP_3)
	v_add_co_u32 v23, s5, s18, v6
	s_wait_alu 0xf1ff
	v_add_co_ci_u32_e64 v24, null, s19, v7, s5
	v_mov_b32_e32 v6, 0
	s_delay_alu instid0(VALU_DEP_3)
	v_add_co_u32 v16, s5, v23, v16
	v_mov_b32_e32 v7, 0
	s_wait_alu 0xf1ff
	v_add_co_ci_u32_e64 v17, null, v24, v17, s5
	s_mov_b32 s5, exec_lo
	v_cmpx_ne_u32_e64 v19, v22
	s_cbranch_execz .LBB2_15
; %bb.19:                               ;   in Loop: Header=BB2_17 Depth=2
	global_load_b64 v[6:7], v[16:17], off offset:8
	s_wait_loadcnt 0x0
	v_xor_b32_e32 v23, 0x80000000, v7
	s_delay_alu instid0(VALU_DEP_1)
	v_cndmask_b32_e32 v7, v23, v7, vcc_lo
	s_branch .LBB2_15
.LBB2_20:                               ;   in Loop: Header=BB2_6 Depth=1
	v_dual_mov_b32 v4, v10 :: v_dual_mov_b32 v5, v11
	s_and_saveexec_b32 s4, s27
	s_cbranch_execz .LBB2_5
	s_branch .LBB2_29
.LBB2_21:                               ;   in Loop: Header=BB2_6 Depth=1
	s_or_b32 exec_lo, exec_lo, s43
.LBB2_22:                               ;   in Loop: Header=BB2_6 Depth=1
	s_wait_alu 0xfffe
	s_or_b32 exec_lo, exec_lo, s40
	ds_store_b128 v20, v[0:3]
	s_wait_dscnt 0x0
	s_barrier_signal -1
	s_barrier_wait -1
	global_inv scope:SCOPE_SE
                                        ; implicit-def: $vgpr2_vgpr3
	s_and_saveexec_b32 s4, s23
	s_cbranch_execz .LBB2_28
; %bb.23:                               ;   in Loop: Header=BB2_6 Depth=1
	ds_load_b128 v[0:3], v21
	ds_load_b128 v[4:7], v21 offset:1024
	s_mov_b32 s18, s27
	s_wait_dscnt 0x0
	v_add_f64_e32 v[16:17], v[0:1], v[4:5]
	v_add_f64_e32 v[22:23], v[2:3], v[6:7]
	ds_load_b128 v[0:3], v21 offset:2048
	ds_load_b128 v[4:7], v21 offset:3072
	s_wait_dscnt 0x1
	v_add_f64_e32 v[0:1], v[16:17], v[0:1]
	v_add_f64_e32 v[2:3], v[22:23], v[2:3]
	s_wait_dscnt 0x0
	s_delay_alu instid0(VALU_DEP_2) | instskip(NEXT) | instid1(VALU_DEP_2)
	v_add_f64_e32 v[16:17], v[0:1], v[4:5]
	v_add_f64_e32 v[22:23], v[2:3], v[6:7]
	ds_load_b128 v[0:3], v21 offset:4096
	ds_load_b128 v[4:7], v21 offset:5120
	s_wait_dscnt 0x1
	v_add_f64_e32 v[0:1], v[16:17], v[0:1]
	v_add_f64_e32 v[2:3], v[22:23], v[2:3]
	s_wait_dscnt 0x0
	s_delay_alu instid0(VALU_DEP_2) | instskip(NEXT) | instid1(VALU_DEP_2)
	;; [unrolled: 9-line block ×4, first 2 shown]
	v_add_f64_e32 v[0:1], v[0:1], v[4:5]
	v_add_f64_e32 v[2:3], v[2:3], v[6:7]
	ds_load_b128 v[4:7], v21 offset:10240
	ds_load_b128 v[22:25], v21 offset:11264
	s_wait_dscnt 0x1
	v_add_f64_e32 v[26:27], v[0:1], v[4:5]
	v_add_f64_e32 v[28:29], v[2:3], v[6:7]
	ds_load_b128 v[4:7], v21 offset:12288
	ds_load_b128 v[30:33], v21 offset:13312
	s_wait_dscnt 0x2
	v_add_f64_e32 v[22:23], v[26:27], v[22:23]
	v_add_f64_e32 v[24:25], v[28:29], v[24:25]
	s_wait_dscnt 0x1
	s_delay_alu instid0(VALU_DEP_2) | instskip(NEXT) | instid1(VALU_DEP_2)
	v_add_f64_e32 v[34:35], v[22:23], v[4:5]
	v_add_f64_e32 v[36:37], v[24:25], v[6:7]
	ds_load_b128 v[4:7], v21 offset:14336
	ds_load_b128 v[38:41], v21 offset:15360
	s_wait_dscnt 0x2
	v_add_f64_e32 v[30:31], v[34:35], v[30:31]
	v_add_f64_e32 v[32:33], v[36:37], v[32:33]
	s_wait_dscnt 0x1
	s_delay_alu instid0(VALU_DEP_2) | instskip(NEXT) | instid1(VALU_DEP_2)
	v_add_f64_e32 v[42:43], v[30:31], v[4:5]
	v_add_f64_e32 v[44:45], v[32:33], v[6:7]
	ds_store_b128 v21, v[0:3]
	ds_store_b128 v21, v[26:29]
	;; [unrolled: 1-line block ×6, first 2 shown]
                                        ; implicit-def: $vgpr2_vgpr3
	s_wait_dscnt 0x6
	v_add_f64_e32 v[4:5], v[42:43], v[38:39]
	v_add_f64_e32 v[6:7], v[44:45], v[40:41]
	ds_store_b128 v21, v[4:7]
	s_and_saveexec_b32 s5, s3
	s_cbranch_execz .LBB2_27
; %bb.24:                               ;   in Loop: Header=BB2_6 Depth=1
	v_mul_f64_e32 v[0:1], s[30:31], v[6:7]
	v_mul_f64_e32 v[2:3], s[28:29], v[6:7]
	s_and_not1_b32 vcc_lo, exec_lo, s25
	s_delay_alu instid0(VALU_DEP_2) | instskip(NEXT) | instid1(VALU_DEP_2)
	v_fma_f64 v[0:1], s[28:29], v[4:5], -v[0:1]
	v_fma_f64 v[2:3], s[30:31], v[4:5], v[2:3]
	s_wait_alu 0xfffe
	s_cbranch_vccnz .LBB2_26
; %bb.25:                               ;   in Loop: Header=BB2_6 Depth=1
	v_lshlrev_b64_e32 v[4:5], 4, v[8:9]
	s_delay_alu instid0(VALU_DEP_1) | instskip(SKIP_1) | instid1(VALU_DEP_2)
	v_add_co_u32 v4, vcc_lo, s16, v4
	s_wait_alu 0xfffd
	v_add_co_ci_u32_e64 v5, null, s17, v5, vcc_lo
	global_load_b128 v[4:7], v[4:5], off
	s_wait_loadcnt 0x0
	v_mul_f64_e32 v[16:17], s[38:39], v[6:7]
	v_mul_f64_e32 v[6:7], s[36:37], v[6:7]
	s_delay_alu instid0(VALU_DEP_2) | instskip(NEXT) | instid1(VALU_DEP_2)
	v_fma_f64 v[16:17], s[36:37], v[4:5], -v[16:17]
	v_fma_f64 v[4:5], s[38:39], v[4:5], v[6:7]
	s_delay_alu instid0(VALU_DEP_2) | instskip(NEXT) | instid1(VALU_DEP_2)
	v_add_f64_e32 v[0:1], v[0:1], v[16:17]
	v_add_f64_e32 v[2:3], v[2:3], v[4:5]
.LBB2_26:                               ;   in Loop: Header=BB2_6 Depth=1
	s_or_b32 s18, s27, exec_lo
.LBB2_27:                               ;   in Loop: Header=BB2_6 Depth=1
	s_wait_alu 0xfffe
	s_or_b32 exec_lo, exec_lo, s5
	s_delay_alu instid0(SALU_CYCLE_1)
	s_and_not1_b32 s5, s27, exec_lo
	s_and_b32 s18, s18, exec_lo
	s_wait_alu 0xfffe
	s_or_b32 s27, s5, s18
.LBB2_28:                               ;   in Loop: Header=BB2_6 Depth=1
	s_wait_alu 0xfffe
	s_or_b32 exec_lo, exec_lo, s4
	v_dual_mov_b32 v4, v8 :: v_dual_mov_b32 v5, v9
	s_and_saveexec_b32 s4, s27
	s_cbranch_execz .LBB2_5
.LBB2_29:                               ;   in Loop: Header=BB2_6 Depth=1
	s_delay_alu instid0(VALU_DEP_1) | instskip(NEXT) | instid1(VALU_DEP_1)
	v_lshlrev_b64_e32 v[4:5], 4, v[4:5]
	v_add_co_u32 v4, vcc_lo, s16, v4
	s_wait_alu 0xfffd
	s_delay_alu instid0(VALU_DEP_2)
	v_add_co_ci_u32_e64 v5, null, s17, v5, vcc_lo
	global_store_b128 v[4:5], v[0:3], off
	s_branch .LBB2_5
.LBB2_30:
	s_endpgm
	.section	.rodata,"a",@progbits
	.p2align	6, 0x0
	.amdhsa_kernel _ZL19rocblas_hpmv_kernelILi64ELi16EPK19rocblas_complex_numIdES3_PS1_EvbiT1_T2_llS6_lllS5_T3_llli
		.amdhsa_group_segment_fixed_size 16384
		.amdhsa_private_segment_fixed_size 0
		.amdhsa_kernarg_size 116
		.amdhsa_user_sgpr_count 2
		.amdhsa_user_sgpr_dispatch_ptr 0
		.amdhsa_user_sgpr_queue_ptr 0
		.amdhsa_user_sgpr_kernarg_segment_ptr 1
		.amdhsa_user_sgpr_dispatch_id 0
		.amdhsa_user_sgpr_private_segment_size 0
		.amdhsa_wavefront_size32 1
		.amdhsa_uses_dynamic_stack 0
		.amdhsa_enable_private_segment 0
		.amdhsa_system_sgpr_workgroup_id_x 1
		.amdhsa_system_sgpr_workgroup_id_y 0
		.amdhsa_system_sgpr_workgroup_id_z 1
		.amdhsa_system_sgpr_workgroup_info 0
		.amdhsa_system_vgpr_workitem_id 1
		.amdhsa_next_free_vgpr 46
		.amdhsa_next_free_sgpr 45
		.amdhsa_reserve_vcc 1
		.amdhsa_float_round_mode_32 0
		.amdhsa_float_round_mode_16_64 0
		.amdhsa_float_denorm_mode_32 3
		.amdhsa_float_denorm_mode_16_64 3
		.amdhsa_fp16_overflow 0
		.amdhsa_workgroup_processor_mode 1
		.amdhsa_memory_ordered 1
		.amdhsa_forward_progress 1
		.amdhsa_inst_pref_size 15
		.amdhsa_round_robin_scheduling 0
		.amdhsa_exception_fp_ieee_invalid_op 0
		.amdhsa_exception_fp_denorm_src 0
		.amdhsa_exception_fp_ieee_div_zero 0
		.amdhsa_exception_fp_ieee_overflow 0
		.amdhsa_exception_fp_ieee_underflow 0
		.amdhsa_exception_fp_ieee_inexact 0
		.amdhsa_exception_int_div_zero 0
	.end_amdhsa_kernel
	.section	.text._ZL19rocblas_hpmv_kernelILi64ELi16EPK19rocblas_complex_numIdES3_PS1_EvbiT1_T2_llS6_lllS5_T3_llli,"axG",@progbits,_ZL19rocblas_hpmv_kernelILi64ELi16EPK19rocblas_complex_numIdES3_PS1_EvbiT1_T2_llS6_lllS5_T3_llli,comdat
.Lfunc_end2:
	.size	_ZL19rocblas_hpmv_kernelILi64ELi16EPK19rocblas_complex_numIdES3_PS1_EvbiT1_T2_llS6_lllS5_T3_llli, .Lfunc_end2-_ZL19rocblas_hpmv_kernelILi64ELi16EPK19rocblas_complex_numIdES3_PS1_EvbiT1_T2_llS6_lllS5_T3_llli
                                        ; -- End function
	.set _ZL19rocblas_hpmv_kernelILi64ELi16EPK19rocblas_complex_numIdES3_PS1_EvbiT1_T2_llS6_lllS5_T3_llli.num_vgpr, 46
	.set _ZL19rocblas_hpmv_kernelILi64ELi16EPK19rocblas_complex_numIdES3_PS1_EvbiT1_T2_llS6_lllS5_T3_llli.num_agpr, 0
	.set _ZL19rocblas_hpmv_kernelILi64ELi16EPK19rocblas_complex_numIdES3_PS1_EvbiT1_T2_llS6_lllS5_T3_llli.numbered_sgpr, 45
	.set _ZL19rocblas_hpmv_kernelILi64ELi16EPK19rocblas_complex_numIdES3_PS1_EvbiT1_T2_llS6_lllS5_T3_llli.num_named_barrier, 0
	.set _ZL19rocblas_hpmv_kernelILi64ELi16EPK19rocblas_complex_numIdES3_PS1_EvbiT1_T2_llS6_lllS5_T3_llli.private_seg_size, 0
	.set _ZL19rocblas_hpmv_kernelILi64ELi16EPK19rocblas_complex_numIdES3_PS1_EvbiT1_T2_llS6_lllS5_T3_llli.uses_vcc, 1
	.set _ZL19rocblas_hpmv_kernelILi64ELi16EPK19rocblas_complex_numIdES3_PS1_EvbiT1_T2_llS6_lllS5_T3_llli.uses_flat_scratch, 0
	.set _ZL19rocblas_hpmv_kernelILi64ELi16EPK19rocblas_complex_numIdES3_PS1_EvbiT1_T2_llS6_lllS5_T3_llli.has_dyn_sized_stack, 0
	.set _ZL19rocblas_hpmv_kernelILi64ELi16EPK19rocblas_complex_numIdES3_PS1_EvbiT1_T2_llS6_lllS5_T3_llli.has_recursion, 0
	.set _ZL19rocblas_hpmv_kernelILi64ELi16EPK19rocblas_complex_numIdES3_PS1_EvbiT1_T2_llS6_lllS5_T3_llli.has_indirect_call, 0
	.section	.AMDGPU.csdata,"",@progbits
; Kernel info:
; codeLenInByte = 1896
; TotalNumSgprs: 47
; NumVgprs: 46
; ScratchSize: 0
; MemoryBound: 0
; FloatMode: 240
; IeeeMode: 1
; LDSByteSize: 16384 bytes/workgroup (compile time only)
; SGPRBlocks: 0
; VGPRBlocks: 5
; NumSGPRsForWavesPerEU: 47
; NumVGPRsForWavesPerEU: 46
; Occupancy: 16
; WaveLimiterHint : 0
; COMPUTE_PGM_RSRC2:SCRATCH_EN: 0
; COMPUTE_PGM_RSRC2:USER_SGPR: 2
; COMPUTE_PGM_RSRC2:TRAP_HANDLER: 0
; COMPUTE_PGM_RSRC2:TGID_X_EN: 1
; COMPUTE_PGM_RSRC2:TGID_Y_EN: 0
; COMPUTE_PGM_RSRC2:TGID_Z_EN: 1
; COMPUTE_PGM_RSRC2:TIDIG_COMP_CNT: 1
	.section	.text._ZL19rocblas_hpmv_kernelILi64ELi16E19rocblas_complex_numIdEPKS1_PS1_EvbiT1_T2_llS6_lllS5_T3_llli,"axG",@progbits,_ZL19rocblas_hpmv_kernelILi64ELi16E19rocblas_complex_numIdEPKS1_PS1_EvbiT1_T2_llS6_lllS5_T3_llli,comdat
	.globl	_ZL19rocblas_hpmv_kernelILi64ELi16E19rocblas_complex_numIdEPKS1_PS1_EvbiT1_T2_llS6_lllS5_T3_llli ; -- Begin function _ZL19rocblas_hpmv_kernelILi64ELi16E19rocblas_complex_numIdEPKS1_PS1_EvbiT1_T2_llS6_lllS5_T3_llli
	.p2align	8
	.type	_ZL19rocblas_hpmv_kernelILi64ELi16E19rocblas_complex_numIdEPKS1_PS1_EvbiT1_T2_llS6_lllS5_T3_llli,@function
_ZL19rocblas_hpmv_kernelILi64ELi16E19rocblas_complex_numIdEPKS1_PS1_EvbiT1_T2_llS6_lllS5_T3_llli: ; @_ZL19rocblas_hpmv_kernelILi64ELi16E19rocblas_complex_numIdEPKS1_PS1_EvbiT1_T2_llS6_lllS5_T3_llli
; %bb.0:
	s_clause 0x1
	s_load_b512 s[8:23], s[0:1], 0x8
	s_load_b256 s[24:31], s[0:1], 0x48
	s_wait_kmcnt 0x0
	v_cmp_neq_f64_e64 s2, s[8:9], 0
	v_cmp_neq_f64_e64 s3, s[10:11], 0
	s_or_b32 s2, s2, s3
	s_mov_b32 s3, -1
	s_and_b32 vcc_lo, exec_lo, s2
	s_cbranch_vccnz .LBB3_2
; %bb.1:
	v_cmp_neq_f64_e64 s3, s[26:27], 1.0
	v_cmp_neq_f64_e64 s4, s[28:29], 0
	s_or_b32 s3, s3, s4
.LBB3_2:
	s_delay_alu instid0(SALU_CYCLE_1)
	s_and_not1_b32 vcc_lo, exec_lo, s3
	s_cbranch_vccnz .LBB3_30
; %bb.3:
	s_load_b32 s33, s[0:1], 0x80
	s_lshr_b32 s34, ttmp7, 16
	s_wait_kmcnt 0x0
	s_cmp_ge_u32 s34, s33
	s_cbranch_scc1 .LBB3_30
; %bb.4:
	s_load_b128 s[4:7], s[0:1], 0x68
	v_bfe_u32 v2, v0, 10, 10
	v_and_b32_e32 v6, 0x3ff, v0
	s_clause 0x1
	s_load_b64 s[36:37], s[0:1], 0x0
	s_load_b64 s[38:39], s[0:1], 0x78
	v_cmp_neq_f64_e64 s35, s[26:27], 0
	v_cmp_neq_f64_e64 s41, s[28:29], 0
	v_add_nc_u32_e32 v1, ttmp9, v2
	v_lshl_add_u32 v12, v2, 6, v6
	s_lshl_b64 s[0:1], s[14:15], 4
	s_xor_b32 s40, s2, -1
	s_wait_alu 0xfffe
	s_add_nc_u64 s[12:13], s[12:13], s[0:1]
	v_lshl_add_u32 v1, v1, 6, v6
	v_lshrrev_b32_e32 v19, 6, v12
	v_cmp_gt_u32_e64 s3, 64, v12
	s_delay_alu instid0(VALU_DEP_2)
	v_mad_co_u64_u32 v[3:4], null, s22, v19, 0
	v_and_b32_e32 v7, 63, v0
	v_ashrrev_i32_e32 v0, 31, v1
	s_wait_kmcnt 0x0
	v_mul_lo_u32 v13, s7, v1
	v_mad_co_u64_u32 v[8:9], null, s6, v1, 0
	s_lshl_b64 s[0:1], s[4:5], 4
	v_mul_lo_u32 v0, s6, v0
	s_bitcmp1_b32 s36, 0
	s_wait_alu 0xfffe
	s_add_nc_u64 s[6:7], s[30:31], s[0:1]
	s_cselect_b32 s0, -1, 0
	s_lshl_b32 s4, s37, 1
	s_ashr_i32 s5, s37, 31
	s_or_b32 s30, s4, 1
	s_mov_b32 s4, s37
	v_add3_u32 v11, v9, v0, v13
	v_mov_b32_e32 v0, v4
	s_wait_alu 0xfffe
	v_lshl_or_b32 v18, ttmp9, 6, v7
	v_cmp_gt_i32_e32 vcc_lo, s37, v1
	v_mov_b32_e32 v10, v8
	v_cmp_gt_i32_e64 s1, s37, v19
	v_mad_co_u64_u32 v[4:5], null, s23, v19, v[0:1]
	v_cmp_gt_i32_e64 s2, s37, v18
	v_lshlrev_b32_e32 v5, 4, v6
	v_lshlrev_b32_e32 v6, 10, v2
	v_mov_b32_e32 v2, 0
	v_and_or_b32 v0, 0x1ffc0, v12, v7
	s_and_b32 s31, s3, s2
	v_lshlrev_b64_e32 v[3:4], 4, v[3:4]
	s_and_b32 s36, s31, vcc_lo
	v_cmp_gt_i64_e64 s3, s[4:5], v[1:2]
	s_lshl_b64 s[4:5], s[20:21], 4
	v_lshlrev_b32_e32 v20, 4, v0
	s_wait_alu 0xfffe
	s_add_nc_u64 s[4:5], s[18:19], s[4:5]
	v_lshlrev_b64_e32 v[14:15], 4, v[10:11]
	s_wait_alu 0xfffe
	v_add_co_u32 v0, s4, s4, v3
	s_wait_alu 0xf1ff
	v_add_co_ci_u32_e64 v1, null, s5, v4, s4
	v_add_nc_u32_e32 v21, v5, v6
	s_delay_alu instid0(VALU_DEP_3) | instskip(SKIP_1) | instid1(VALU_DEP_4)
	v_add_co_u32 v12, vcc_lo, v0, 8
	v_add_nc_u32_e32 v9, v9, v13
	v_add_co_ci_u32_e64 v13, null, 0, v1, vcc_lo
	s_lshl_b64 s[14:15], s[24:25], 4
	s_or_b32 s24, s35, s41
	s_lshl_b64 s[18:19], s[22:23], 8
	s_mov_b32 s35, 0
	s_xor_b32 s25, s0, -1
	s_branch .LBB3_6
.LBB3_5:                                ;   in Loop: Header=BB3_6 Depth=1
	s_wait_alu 0xfffe
	s_or_b32 exec_lo, exec_lo, s4
	s_add_co_i32 s34, s34, 0x10000
	s_wait_alu 0xfffe
	s_cmp_lt_u32 s34, s33
	s_cbranch_scc0 .LBB3_30
.LBB3_6:                                ; =>This Loop Header: Depth=1
                                        ;     Child Loop BB3_17 Depth 2
	s_mul_u64 s[4:5], s[38:39], s[34:35]
	s_and_not1_b32 vcc_lo, exec_lo, s40
	s_wait_alu 0xfffe
	s_lshl_b64 s[4:5], s[4:5], 4
	s_mov_b32 s41, s35
	s_wait_alu 0xfffe
	s_add_nc_u64 s[20:21], s[6:7], s[4:5]
	s_mov_b32 s4, -1
                                        ; implicit-def: $vgpr2_vgpr3
	s_cbranch_vccnz .LBB3_12
; %bb.7:                                ;   in Loop: Header=BB3_6 Depth=1
	s_mov_b32 s4, 0
	s_mov_b32 s41, 0
                                        ; implicit-def: $vgpr2_vgpr3
	s_and_saveexec_b32 s5, s36
	s_cbranch_execz .LBB3_11
; %bb.8:                                ;   in Loop: Header=BB3_6 Depth=1
	v_mov_b32_e32 v2, 0
	v_dual_mov_b32 v3, 0 :: v_dual_mov_b32 v0, 0
	v_mov_b32_e32 v1, 0
	s_and_not1_b32 vcc_lo, exec_lo, s24
	s_wait_alu 0xfffe
	s_cbranch_vccnz .LBB3_10
; %bb.9:                                ;   in Loop: Header=BB3_6 Depth=1
	v_add_co_u32 v0, vcc_lo, s20, v14
	s_wait_alu 0xfffd
	v_add_co_ci_u32_e64 v1, null, s21, v15, vcc_lo
	global_load_b128 v[2:5], v[0:1], off
	s_wait_loadcnt 0x0
	v_mul_f64_e32 v[0:1], s[28:29], v[4:5]
	v_mul_f64_e32 v[4:5], s[26:27], v[4:5]
	s_delay_alu instid0(VALU_DEP_2) | instskip(NEXT) | instid1(VALU_DEP_2)
	v_fma_f64 v[0:1], s[26:27], v[2:3], -v[0:1]
	v_fma_f64 v[2:3], s[28:29], v[2:3], v[4:5]
.LBB3_10:                               ;   in Loop: Header=BB3_6 Depth=1
	s_mov_b32 s41, exec_lo
.LBB3_11:                               ;   in Loop: Header=BB3_6 Depth=1
	s_wait_alu 0xfffe
	s_or_b32 exec_lo, exec_lo, s5
.LBB3_12:                               ;   in Loop: Header=BB3_6 Depth=1
	s_wait_alu 0xfffe
	s_and_b32 vcc_lo, exec_lo, s4
	s_wait_alu 0xfffe
	s_cbranch_vccz .LBB3_20
; %bb.13:                               ;   in Loop: Header=BB3_6 Depth=1
	v_mov_b32_e32 v2, 0
	v_dual_mov_b32 v3, 0 :: v_dual_mov_b32 v0, 0
	v_mov_b32_e32 v1, 0
	s_and_saveexec_b32 s42, s1
	s_cbranch_execz .LBB3_22
; %bb.14:                               ;   in Loop: Header=BB3_6 Depth=1
	v_mad_co_u64_u32 v[4:5], null, s14, s34, v[12:13]
	v_mov_b32_e32 v2, 0
	s_mul_u64 s[4:5], s[16:17], s[34:35]
	s_mov_b32 s43, 0
	s_wait_alu 0xfffe
	s_lshl_b64 s[4:5], s[4:5], 4
	v_dual_mov_b32 v3, 0 :: v_dual_mov_b32 v22, v19
	s_delay_alu instid0(VALU_DEP_3) | instskip(SKIP_2) | instid1(VALU_DEP_1)
	v_mov_b32_e32 v0, v5
	s_wait_alu 0xfffe
	s_add_nc_u64 s[22:23], s[12:13], s[4:5]
	v_mad_co_u64_u32 v[0:1], null, s15, s34, v[0:1]
	s_delay_alu instid0(VALU_DEP_1)
	v_dual_mov_b32 v5, v0 :: v_dual_mov_b32 v0, v2
	v_mov_b32_e32 v1, v3
	s_branch .LBB3_17
.LBB3_15:                               ;   in Loop: Header=BB3_17 Depth=2
	s_wait_alu 0xfffe
	s_or_b32 exec_lo, exec_lo, s5
	global_load_b128 v[23:26], v[4:5], off offset:-8
	global_load_b64 v[16:17], v[16:17], off
	s_wait_loadcnt 0x1
	v_mul_f64_e32 v[27:28], v[6:7], v[25:26]
	s_wait_loadcnt 0x0
	v_mul_f64_e32 v[25:26], v[16:17], v[25:26]
	s_delay_alu instid0(VALU_DEP_2) | instskip(NEXT) | instid1(VALU_DEP_2)
	v_fma_f64 v[16:17], v[16:17], v[23:24], -v[27:28]
	v_fma_f64 v[6:7], v[6:7], v[23:24], v[25:26]
	s_delay_alu instid0(VALU_DEP_2) | instskip(NEXT) | instid1(VALU_DEP_2)
	v_add_f64_e32 v[0:1], v[0:1], v[16:17]
	v_add_f64_e32 v[2:3], v[2:3], v[6:7]
.LBB3_16:                               ;   in Loop: Header=BB3_17 Depth=2
	s_or_b32 exec_lo, exec_lo, s44
	v_add_nc_u32_e32 v22, 16, v22
	v_add_co_u32 v4, s4, v4, s18
	s_wait_alu 0xf1ff
	v_add_co_ci_u32_e64 v5, null, s19, v5, s4
	s_delay_alu instid0(VALU_DEP_3) | instskip(SKIP_1) | instid1(SALU_CYCLE_1)
	v_cmp_le_i32_e32 vcc_lo, s37, v22
	s_or_b32 s43, vcc_lo, s43
	s_and_not1_b32 exec_lo, exec_lo, s43
	s_cbranch_execz .LBB3_21
.LBB3_17:                               ;   Parent Loop BB3_6 Depth=1
                                        ; =>  This Inner Loop Header: Depth=2
	s_and_saveexec_b32 s44, s2
	s_cbranch_execz .LBB3_16
; %bb.18:                               ;   in Loop: Header=BB3_17 Depth=2
	v_cmp_le_i32_e32 vcc_lo, v18, v22
	v_cmp_ge_i32_e64 s4, v18, v22
	s_or_b32 s5, s25, vcc_lo
	s_or_b32 s4, s0, s4
	s_wait_alu 0xfffe
	s_and_b32 vcc_lo, s5, s4
	s_wait_alu 0xfffe
	v_cndmask_b32_e32 v17, v18, v22, vcc_lo
	s_delay_alu instid0(VALU_DEP_1) | instskip(SKIP_1) | instid1(VALU_DEP_1)
	v_dual_cndmask_b32 v16, v22, v18 :: v_dual_add_nc_u32 v7, 1, v17
	v_sub_nc_u32_e32 v6, s30, v17
	v_cndmask_b32_e64 v6, v6, v7, s0
	s_delay_alu instid0(VALU_DEP_1) | instskip(NEXT) | instid1(VALU_DEP_1)
	v_mad_co_i64_i32 v[6:7], null, v6, v17, 0
	v_lshrrev_b32_e32 v23, 31, v7
	s_delay_alu instid0(VALU_DEP_1) | instskip(SKIP_2) | instid1(VALU_DEP_1)
	v_add_co_u32 v6, s4, v6, v23
	s_wait_alu 0xf1ff
	v_add_co_ci_u32_e64 v7, null, 0, v7, s4
	v_lshlrev_b64_e32 v[6:7], 3, v[6:7]
	s_delay_alu instid0(VALU_DEP_1) | instskip(NEXT) | instid1(VALU_DEP_1)
	v_and_b32_e32 v6, -16, v6
	v_add_co_u32 v23, s5, s22, v6
	s_wait_alu 0xf1ff
	s_delay_alu instid0(VALU_DEP_3) | instskip(SKIP_3) | instid1(VALU_DEP_2)
	v_add_co_ci_u32_e64 v24, null, s23, v7, s5
	v_mov_b32_e32 v6, 0
	v_cndmask_b32_e64 v17, v17, 0, s0
	v_mov_b32_e32 v7, 0
	v_sub_nc_u32_e32 v16, v16, v17
	s_delay_alu instid0(VALU_DEP_1) | instskip(NEXT) | instid1(VALU_DEP_1)
	v_ashrrev_i32_e32 v17, 31, v16
	v_lshlrev_b64_e32 v[16:17], 4, v[16:17]
	s_delay_alu instid0(VALU_DEP_1) | instskip(SKIP_1) | instid1(VALU_DEP_2)
	v_add_co_u32 v16, s5, v23, v16
	s_wait_alu 0xf1ff
	v_add_co_ci_u32_e64 v17, null, v24, v17, s5
	s_mov_b32 s5, exec_lo
	v_cmpx_ne_u32_e64 v18, v22
	s_cbranch_execz .LBB3_15
; %bb.19:                               ;   in Loop: Header=BB3_17 Depth=2
	global_load_b64 v[6:7], v[16:17], off offset:8
	s_wait_loadcnt 0x0
	v_xor_b32_e32 v23, 0x80000000, v7
	s_delay_alu instid0(VALU_DEP_1)
	v_cndmask_b32_e32 v7, v23, v7, vcc_lo
	s_branch .LBB3_15
.LBB3_20:                               ;   in Loop: Header=BB3_6 Depth=1
	v_dual_mov_b32 v4, v10 :: v_dual_mov_b32 v5, v11
	s_and_saveexec_b32 s4, s41
	s_cbranch_execz .LBB3_5
	s_branch .LBB3_29
.LBB3_21:                               ;   in Loop: Header=BB3_6 Depth=1
	s_or_b32 exec_lo, exec_lo, s43
.LBB3_22:                               ;   in Loop: Header=BB3_6 Depth=1
	s_delay_alu instid0(SALU_CYCLE_1)
	s_or_b32 exec_lo, exec_lo, s42
	ds_store_b128 v20, v[0:3]
	s_wait_dscnt 0x0
	s_barrier_signal -1
	s_barrier_wait -1
	global_inv scope:SCOPE_SE
                                        ; implicit-def: $vgpr2_vgpr3
	s_and_saveexec_b32 s4, s31
	s_cbranch_execz .LBB3_28
; %bb.23:                               ;   in Loop: Header=BB3_6 Depth=1
	ds_load_b128 v[0:3], v21
	ds_load_b128 v[4:7], v21 offset:1024
	s_mov_b32 s22, s41
	s_wait_dscnt 0x0
	v_add_f64_e32 v[16:17], v[0:1], v[4:5]
	v_add_f64_e32 v[22:23], v[2:3], v[6:7]
	ds_load_b128 v[0:3], v21 offset:2048
	ds_load_b128 v[4:7], v21 offset:3072
	s_wait_dscnt 0x1
	v_add_f64_e32 v[0:1], v[16:17], v[0:1]
	v_add_f64_e32 v[2:3], v[22:23], v[2:3]
	s_wait_dscnt 0x0
	s_delay_alu instid0(VALU_DEP_2) | instskip(NEXT) | instid1(VALU_DEP_2)
	v_add_f64_e32 v[16:17], v[0:1], v[4:5]
	v_add_f64_e32 v[22:23], v[2:3], v[6:7]
	ds_load_b128 v[0:3], v21 offset:4096
	ds_load_b128 v[4:7], v21 offset:5120
	s_wait_dscnt 0x1
	v_add_f64_e32 v[0:1], v[16:17], v[0:1]
	v_add_f64_e32 v[2:3], v[22:23], v[2:3]
	s_wait_dscnt 0x0
	s_delay_alu instid0(VALU_DEP_2) | instskip(NEXT) | instid1(VALU_DEP_2)
	;; [unrolled: 9-line block ×4, first 2 shown]
	v_add_f64_e32 v[0:1], v[0:1], v[4:5]
	v_add_f64_e32 v[2:3], v[2:3], v[6:7]
	ds_load_b128 v[4:7], v21 offset:10240
	ds_load_b128 v[22:25], v21 offset:11264
	s_wait_dscnt 0x1
	v_add_f64_e32 v[26:27], v[0:1], v[4:5]
	v_add_f64_e32 v[28:29], v[2:3], v[6:7]
	ds_load_b128 v[4:7], v21 offset:12288
	ds_load_b128 v[30:33], v21 offset:13312
	s_wait_dscnt 0x2
	v_add_f64_e32 v[22:23], v[26:27], v[22:23]
	v_add_f64_e32 v[24:25], v[28:29], v[24:25]
	s_wait_dscnt 0x1
	s_delay_alu instid0(VALU_DEP_2) | instskip(NEXT) | instid1(VALU_DEP_2)
	v_add_f64_e32 v[34:35], v[22:23], v[4:5]
	v_add_f64_e32 v[36:37], v[24:25], v[6:7]
	ds_load_b128 v[4:7], v21 offset:14336
	ds_load_b128 v[38:41], v21 offset:15360
	s_wait_dscnt 0x2
	v_add_f64_e32 v[30:31], v[34:35], v[30:31]
	v_add_f64_e32 v[32:33], v[36:37], v[32:33]
	s_wait_dscnt 0x1
	s_delay_alu instid0(VALU_DEP_2) | instskip(NEXT) | instid1(VALU_DEP_2)
	v_add_f64_e32 v[42:43], v[30:31], v[4:5]
	v_add_f64_e32 v[44:45], v[32:33], v[6:7]
	ds_store_b128 v21, v[0:3]
	ds_store_b128 v21, v[26:29]
	;; [unrolled: 1-line block ×6, first 2 shown]
                                        ; implicit-def: $vgpr2_vgpr3
	s_wait_dscnt 0x6
	v_add_f64_e32 v[4:5], v[42:43], v[38:39]
	v_add_f64_e32 v[6:7], v[44:45], v[40:41]
	ds_store_b128 v21, v[4:7]
	s_and_saveexec_b32 s5, s3
	s_cbranch_execz .LBB3_27
; %bb.24:                               ;   in Loop: Header=BB3_6 Depth=1
	v_mul_f64_e32 v[0:1], s[10:11], v[6:7]
	v_mul_f64_e32 v[2:3], s[8:9], v[6:7]
	s_and_not1_b32 vcc_lo, exec_lo, s24
	s_delay_alu instid0(VALU_DEP_2) | instskip(NEXT) | instid1(VALU_DEP_2)
	v_fma_f64 v[0:1], s[8:9], v[4:5], -v[0:1]
	v_fma_f64 v[2:3], s[10:11], v[4:5], v[2:3]
	s_wait_alu 0xfffe
	s_cbranch_vccnz .LBB3_26
; %bb.25:                               ;   in Loop: Header=BB3_6 Depth=1
	v_lshlrev_b64_e32 v[4:5], 4, v[8:9]
	s_delay_alu instid0(VALU_DEP_1) | instskip(SKIP_1) | instid1(VALU_DEP_2)
	v_add_co_u32 v4, vcc_lo, s20, v4
	s_wait_alu 0xfffd
	v_add_co_ci_u32_e64 v5, null, s21, v5, vcc_lo
	global_load_b128 v[4:7], v[4:5], off
	s_wait_loadcnt 0x0
	v_mul_f64_e32 v[16:17], s[28:29], v[6:7]
	v_mul_f64_e32 v[6:7], s[26:27], v[6:7]
	s_delay_alu instid0(VALU_DEP_2) | instskip(NEXT) | instid1(VALU_DEP_2)
	v_fma_f64 v[16:17], s[26:27], v[4:5], -v[16:17]
	v_fma_f64 v[4:5], s[28:29], v[4:5], v[6:7]
	s_delay_alu instid0(VALU_DEP_2) | instskip(NEXT) | instid1(VALU_DEP_2)
	v_add_f64_e32 v[0:1], v[0:1], v[16:17]
	v_add_f64_e32 v[2:3], v[2:3], v[4:5]
.LBB3_26:                               ;   in Loop: Header=BB3_6 Depth=1
	s_or_b32 s22, s41, exec_lo
.LBB3_27:                               ;   in Loop: Header=BB3_6 Depth=1
	s_wait_alu 0xfffe
	s_or_b32 exec_lo, exec_lo, s5
	s_delay_alu instid0(SALU_CYCLE_1)
	s_and_not1_b32 s5, s41, exec_lo
	s_and_b32 s22, s22, exec_lo
	s_wait_alu 0xfffe
	s_or_b32 s41, s5, s22
.LBB3_28:                               ;   in Loop: Header=BB3_6 Depth=1
	s_wait_alu 0xfffe
	s_or_b32 exec_lo, exec_lo, s4
	v_dual_mov_b32 v4, v8 :: v_dual_mov_b32 v5, v9
	s_and_saveexec_b32 s4, s41
	s_cbranch_execz .LBB3_5
.LBB3_29:                               ;   in Loop: Header=BB3_6 Depth=1
	s_delay_alu instid0(VALU_DEP_1) | instskip(NEXT) | instid1(VALU_DEP_1)
	v_lshlrev_b64_e32 v[4:5], 4, v[4:5]
	v_add_co_u32 v4, vcc_lo, s20, v4
	s_wait_alu 0xfffd
	s_delay_alu instid0(VALU_DEP_2)
	v_add_co_ci_u32_e64 v5, null, s21, v5, vcc_lo
	global_store_b128 v[4:5], v[0:3], off
	s_branch .LBB3_5
.LBB3_30:
	s_endpgm
	.section	.rodata,"a",@progbits
	.p2align	6, 0x0
	.amdhsa_kernel _ZL19rocblas_hpmv_kernelILi64ELi16E19rocblas_complex_numIdEPKS1_PS1_EvbiT1_T2_llS6_lllS5_T3_llli
		.amdhsa_group_segment_fixed_size 16384
		.amdhsa_private_segment_fixed_size 0
		.amdhsa_kernarg_size 132
		.amdhsa_user_sgpr_count 2
		.amdhsa_user_sgpr_dispatch_ptr 0
		.amdhsa_user_sgpr_queue_ptr 0
		.amdhsa_user_sgpr_kernarg_segment_ptr 1
		.amdhsa_user_sgpr_dispatch_id 0
		.amdhsa_user_sgpr_private_segment_size 0
		.amdhsa_wavefront_size32 1
		.amdhsa_uses_dynamic_stack 0
		.amdhsa_enable_private_segment 0
		.amdhsa_system_sgpr_workgroup_id_x 1
		.amdhsa_system_sgpr_workgroup_id_y 0
		.amdhsa_system_sgpr_workgroup_id_z 1
		.amdhsa_system_sgpr_workgroup_info 0
		.amdhsa_system_vgpr_workitem_id 1
		.amdhsa_next_free_vgpr 46
		.amdhsa_next_free_sgpr 45
		.amdhsa_reserve_vcc 1
		.amdhsa_float_round_mode_32 0
		.amdhsa_float_round_mode_16_64 0
		.amdhsa_float_denorm_mode_32 3
		.amdhsa_float_denorm_mode_16_64 3
		.amdhsa_fp16_overflow 0
		.amdhsa_workgroup_processor_mode 1
		.amdhsa_memory_ordered 1
		.amdhsa_forward_progress 1
		.amdhsa_inst_pref_size 15
		.amdhsa_round_robin_scheduling 0
		.amdhsa_exception_fp_ieee_invalid_op 0
		.amdhsa_exception_fp_denorm_src 0
		.amdhsa_exception_fp_ieee_div_zero 0
		.amdhsa_exception_fp_ieee_overflow 0
		.amdhsa_exception_fp_ieee_underflow 0
		.amdhsa_exception_fp_ieee_inexact 0
		.amdhsa_exception_int_div_zero 0
	.end_amdhsa_kernel
	.section	.text._ZL19rocblas_hpmv_kernelILi64ELi16E19rocblas_complex_numIdEPKS1_PS1_EvbiT1_T2_llS6_lllS5_T3_llli,"axG",@progbits,_ZL19rocblas_hpmv_kernelILi64ELi16E19rocblas_complex_numIdEPKS1_PS1_EvbiT1_T2_llS6_lllS5_T3_llli,comdat
.Lfunc_end3:
	.size	_ZL19rocblas_hpmv_kernelILi64ELi16E19rocblas_complex_numIdEPKS1_PS1_EvbiT1_T2_llS6_lllS5_T3_llli, .Lfunc_end3-_ZL19rocblas_hpmv_kernelILi64ELi16E19rocblas_complex_numIdEPKS1_PS1_EvbiT1_T2_llS6_lllS5_T3_llli
                                        ; -- End function
	.set _ZL19rocblas_hpmv_kernelILi64ELi16E19rocblas_complex_numIdEPKS1_PS1_EvbiT1_T2_llS6_lllS5_T3_llli.num_vgpr, 46
	.set _ZL19rocblas_hpmv_kernelILi64ELi16E19rocblas_complex_numIdEPKS1_PS1_EvbiT1_T2_llS6_lllS5_T3_llli.num_agpr, 0
	.set _ZL19rocblas_hpmv_kernelILi64ELi16E19rocblas_complex_numIdEPKS1_PS1_EvbiT1_T2_llS6_lllS5_T3_llli.numbered_sgpr, 45
	.set _ZL19rocblas_hpmv_kernelILi64ELi16E19rocblas_complex_numIdEPKS1_PS1_EvbiT1_T2_llS6_lllS5_T3_llli.num_named_barrier, 0
	.set _ZL19rocblas_hpmv_kernelILi64ELi16E19rocblas_complex_numIdEPKS1_PS1_EvbiT1_T2_llS6_lllS5_T3_llli.private_seg_size, 0
	.set _ZL19rocblas_hpmv_kernelILi64ELi16E19rocblas_complex_numIdEPKS1_PS1_EvbiT1_T2_llS6_lllS5_T3_llli.uses_vcc, 1
	.set _ZL19rocblas_hpmv_kernelILi64ELi16E19rocblas_complex_numIdEPKS1_PS1_EvbiT1_T2_llS6_lllS5_T3_llli.uses_flat_scratch, 0
	.set _ZL19rocblas_hpmv_kernelILi64ELi16E19rocblas_complex_numIdEPKS1_PS1_EvbiT1_T2_llS6_lllS5_T3_llli.has_dyn_sized_stack, 0
	.set _ZL19rocblas_hpmv_kernelILi64ELi16E19rocblas_complex_numIdEPKS1_PS1_EvbiT1_T2_llS6_lllS5_T3_llli.has_recursion, 0
	.set _ZL19rocblas_hpmv_kernelILi64ELi16E19rocblas_complex_numIdEPKS1_PS1_EvbiT1_T2_llS6_lllS5_T3_llli.has_indirect_call, 0
	.section	.AMDGPU.csdata,"",@progbits
; Kernel info:
; codeLenInByte = 1888
; TotalNumSgprs: 47
; NumVgprs: 46
; ScratchSize: 0
; MemoryBound: 0
; FloatMode: 240
; IeeeMode: 1
; LDSByteSize: 16384 bytes/workgroup (compile time only)
; SGPRBlocks: 0
; VGPRBlocks: 5
; NumSGPRsForWavesPerEU: 47
; NumVGPRsForWavesPerEU: 46
; Occupancy: 16
; WaveLimiterHint : 0
; COMPUTE_PGM_RSRC2:SCRATCH_EN: 0
; COMPUTE_PGM_RSRC2:USER_SGPR: 2
; COMPUTE_PGM_RSRC2:TRAP_HANDLER: 0
; COMPUTE_PGM_RSRC2:TGID_X_EN: 1
; COMPUTE_PGM_RSRC2:TGID_Y_EN: 0
; COMPUTE_PGM_RSRC2:TGID_Z_EN: 1
; COMPUTE_PGM_RSRC2:TIDIG_COMP_CNT: 1
	.section	.text._ZL19rocblas_hpmv_kernelILi64ELi16EPK19rocblas_complex_numIfEPKS3_PKPS1_EvbiT1_T2_llSA_lllS9_T3_llli,"axG",@progbits,_ZL19rocblas_hpmv_kernelILi64ELi16EPK19rocblas_complex_numIfEPKS3_PKPS1_EvbiT1_T2_llSA_lllS9_T3_llli,comdat
	.globl	_ZL19rocblas_hpmv_kernelILi64ELi16EPK19rocblas_complex_numIfEPKS3_PKPS1_EvbiT1_T2_llSA_lllS9_T3_llli ; -- Begin function _ZL19rocblas_hpmv_kernelILi64ELi16EPK19rocblas_complex_numIfEPKS3_PKPS1_EvbiT1_T2_llSA_lllS9_T3_llli
	.p2align	8
	.type	_ZL19rocblas_hpmv_kernelILi64ELi16EPK19rocblas_complex_numIfEPKS3_PKPS1_EvbiT1_T2_llSA_lllS9_T3_llli,@function
_ZL19rocblas_hpmv_kernelILi64ELi16EPK19rocblas_complex_numIfEPKS3_PKPS1_EvbiT1_T2_llSA_lllS9_T3_llli: ; @_ZL19rocblas_hpmv_kernelILi64ELi16EPK19rocblas_complex_numIfEPKS3_PKPS1_EvbiT1_T2_llSA_lllS9_T3_llli
; %bb.0:
	s_clause 0x1
	s_load_b128 s[12:15], s[0:1], 0x8
	s_load_b256 s[4:11], s[0:1], 0x48
	s_wait_kmcnt 0x0
	s_load_b64 s[12:13], s[12:13], 0x0
	s_load_b64 s[20:21], s[4:5], 0x0
	s_wait_kmcnt 0x0
	s_cmp_neq_f32 s12, 0
	s_cselect_b32 s2, -1, 0
	s_cmp_neq_f32 s13, 0
	s_cselect_b32 s3, -1, 0
	s_delay_alu instid0(SALU_CYCLE_1) | instskip(NEXT) | instid1(SALU_CYCLE_1)
	s_or_b32 s2, s2, s3
	s_and_b32 vcc_lo, exec_lo, s2
	s_mov_b32 s2, -1
	s_cbranch_vccnz .LBB4_2
; %bb.1:
	s_cmp_neq_f32 s20, 1.0
	s_cselect_b32 s2, -1, 0
	s_cmp_neq_f32 s21, 0
	s_cselect_b32 s3, -1, 0
	s_delay_alu instid0(SALU_CYCLE_1)
	s_or_b32 s2, s2, s3
.LBB4_2:
	s_delay_alu instid0(SALU_CYCLE_1)
	s_and_not1_b32 vcc_lo, exec_lo, s2
	s_cbranch_vccnz .LBB4_33
; %bb.3:
	s_load_b32 s28, s[0:1], 0x70
	s_lshr_b32 s22, ttmp7, 16
	s_wait_kmcnt 0x0
	s_cmp_ge_u32 s22, s28
	s_cbranch_scc1 .LBB4_33
; %bb.4:
	v_bfe_u32 v10, v0, 10, 10
	v_and_b32_e32 v11, 0x3ff, v0
	v_and_b32_e32 v12, 63, v0
	s_clause 0x3
	s_load_b64 s[4:5], s[0:1], 0x38
	s_load_b64 s[26:27], s[0:1], 0x18
	;; [unrolled: 1-line block ×3, first 2 shown]
	s_load_b128 s[16:19], s[0:1], 0x28
	v_add_nc_u32_e32 v1, ttmp9, v10
	s_mov_b32 s23, 0
	s_delay_alu instid0(VALU_DEP_1) | instskip(NEXT) | instid1(VALU_DEP_1)
	v_lshl_add_u32 v0, v1, 6, v11
	v_mad_co_u64_u32 v[6:7], null, s10, v0, 0
	v_ashrrev_i32_e32 v1, 31, v0
	v_mul_lo_u32 v14, s11, v0
	s_delay_alu instid0(VALU_DEP_2) | instskip(NEXT) | instid1(VALU_DEP_4)
	v_mul_lo_u32 v5, s10, v1
	v_mov_b32_e32 v4, v6
	v_lshl_add_u32 v13, v10, 6, v11
	s_wait_kmcnt 0x0
	s_bitcmp1_b32 s24, 0
	v_cmp_gt_i32_e32 vcc_lo, s25, v0
	s_cselect_b32 s0, -1, 0
	s_or_b32 s1, s12, s13
	v_lshrrev_b32_e32 v17, 6, v13
	s_wait_alu 0xfffe
	s_bitset0_b32 s1, 31
	v_add3_u32 v5, v7, v5, v14
	s_wait_alu 0xfffe
	s_cmp_lg_u32 s1, 0
	v_cmp_gt_u32_e64 s3, 64, v13
	v_mad_co_u64_u32 v[2:3], null, s4, v17, 0
	s_cselect_b32 s24, -1, 0
	s_cmp_eq_u32 s1, 0
	v_add_nc_u32_e32 v7, v7, v14
	s_cselect_b32 s29, -1, 0
	s_cmp_neq_f32 s20, 0
	v_lshlrev_b64_e32 v[4:5], 3, v[4:5]
	v_mov_b32_e32 v1, v3
	v_lshl_or_b32 v16, ttmp9, 6, v12
	s_cselect_b32 s34, -1, 0
	s_cmp_neq_f32 s21, 0
	v_lshlrev_b64_e32 v[6:7], 3, v[6:7]
	v_mad_co_u64_u32 v[8:9], null, s5, v17, v[1:2]
	v_and_or_b32 v1, 0x1ffc0, v13, v12
	v_cmp_gt_i32_e64 s1, s25, v16
	s_cselect_b32 s35, -1, 0
	s_lshl_b32 s10, s25, 1
	v_lshlrev_b32_e32 v9, 9, v10
	v_dual_mov_b32 v3, v8 :: v_dual_lshlrev_b32 v18, 3, v1
	v_dual_mov_b32 v1, 0 :: v_dual_lshlrev_b32 v8, 3, v11
	s_wait_alu 0xfffe
	s_or_b32 s30, s10, 1
	s_ashr_i32 s11, s25, 31
	v_lshlrev_b64_e32 v[2:3], 3, v[2:3]
	s_mov_b32 s10, s25
	s_and_b32 s31, s3, s1
	s_wait_alu 0xfffe
	v_cmp_gt_i64_e64 s3, s[10:11], v[0:1]
	v_cmp_gt_i32_e64 s2, s25, v17
	v_add_nc_u32_e32 v19, v8, v9
	v_or_b32_e32 v2, 4, v2
	s_and_b32 s33, s31, vcc_lo
	s_lshl_b64 s[10:11], s[4:5], 7
	s_lshl_b64 s[26:27], s[26:27], 3
	s_or_b32 s34, s34, s35
	s_lshl_b64 s[18:19], s[18:19], 3
	s_lshl_b64 s[8:9], s[8:9], 3
	s_xor_b32 s35, s0, -1
	s_branch .LBB4_8
.LBB4_5:                                ;   in Loop: Header=BB4_8 Depth=1
	v_add_co_u32 v10, vcc_lo, v0, v6
	s_wait_alu 0xfffd
	v_add_co_ci_u32_e64 v11, null, v20, v7, vcc_lo
	flat_store_b64 v[10:11], v[8:9]
.LBB4_6:                                ;   in Loop: Header=BB4_8 Depth=1
	s_wait_alu 0xfffe
	s_or_b32 exec_lo, exec_lo, s4
.LBB4_7:                                ;   in Loop: Header=BB4_8 Depth=1
	s_add_co_i32 s22, s22, 0x10000
	s_delay_alu instid0(SALU_CYCLE_1)
	s_cmp_lt_u32 s22, s28
	s_cbranch_scc0 .LBB4_33
.LBB4_8:                                ; =>This Loop Header: Depth=1
                                        ;     Child Loop BB4_25 Depth 2
	s_and_not1_b32 vcc_lo, exec_lo, s29
	s_mov_b32 s4, -1
	s_wait_alu 0xfffe
	s_cbranch_vccnz .LBB4_10
; %bb.9:                                ;   in Loop: Header=BB4_8 Depth=1
	s_mov_b32 s4, 0
.LBB4_10:                               ;   in Loop: Header=BB4_8 Depth=1
	v_mov_b32_e32 v12, 0
	v_dual_mov_b32 v13, 0 :: v_dual_mov_b32 v8, 0
	v_mov_b32_e32 v9, 0
	s_wait_alu 0xfffe
	s_and_not1_b32 vcc_lo, exec_lo, s4
	s_wait_alu 0xfffe
	s_cbranch_vccnz .LBB4_12
; %bb.11:                               ;   in Loop: Header=BB4_8 Depth=1
	s_lshl_b64 s[4:5], s[22:23], 3
	s_wait_alu 0xfffe
	s_add_nc_u64 s[4:5], s[14:15], s[4:5]
	global_load_b64 v[8:9], v1, s[4:5]
	s_wait_loadcnt 0x0
	v_add_co_u32 v8, vcc_lo, v8, s26
	s_wait_alu 0xfffd
	v_add_co_ci_u32_e64 v9, null, s27, v9, vcc_lo
.LBB4_12:                               ;   in Loop: Header=BB4_8 Depth=1
	s_and_not1_b32 vcc_lo, exec_lo, s24
	s_wait_alu 0xfffe
	s_cbranch_vccnz .LBB4_14
; %bb.13:                               ;   in Loop: Header=BB4_8 Depth=1
	s_lshl_b64 s[4:5], s[22:23], 3
	s_wait_alu 0xfffe
	s_add_nc_u64 s[4:5], s[16:17], s[4:5]
	global_load_b64 v[10:11], v1, s[4:5]
	s_wait_loadcnt 0x0
	v_add_co_u32 v12, vcc_lo, v10, s18
	s_wait_alu 0xfffd
	v_add_co_ci_u32_e64 v13, null, s19, v11, vcc_lo
.LBB4_14:                               ;   in Loop: Header=BB4_8 Depth=1
	s_lshl_b64 s[4:5], s[22:23], 3
	s_wait_alu 0xfffe
	s_add_nc_u64 s[4:5], s[6:7], s[4:5]
	global_load_b64 v[10:11], v1, s[4:5]
	s_mov_b32 s4, -1
	s_wait_loadcnt 0x0
	v_add_co_u32 v0, vcc_lo, v10, s8
	s_wait_alu 0xfffd
	v_add_co_ci_u32_e64 v20, null, s9, v11, vcc_lo
	s_and_not1_b32 vcc_lo, exec_lo, s29
	s_wait_alu 0xfffe
	s_cbranch_vccz .LBB4_16
; %bb.15:                               ;   in Loop: Header=BB4_8 Depth=1
	s_and_not1_b32 vcc_lo, exec_lo, s4
	s_wait_alu 0xfffe
	s_cbranch_vccnz .LBB4_7
	s_branch .LBB4_21
.LBB4_16:                               ;   in Loop: Header=BB4_8 Depth=1
	s_and_saveexec_b32 s4, s33
	s_cbranch_execz .LBB4_20
; %bb.17:                               ;   in Loop: Header=BB4_8 Depth=1
	v_dual_mov_b32 v10, 0 :: v_dual_mov_b32 v11, 0
	s_and_not1_b32 vcc_lo, exec_lo, s34
	s_wait_alu 0xfffe
	s_cbranch_vccnz .LBB4_19
; %bb.18:                               ;   in Loop: Header=BB4_8 Depth=1
	v_add_co_u32 v10, vcc_lo, v0, v4
	s_wait_alu 0xfffd
	v_add_co_ci_u32_e64 v11, null, v20, v5, vcc_lo
	flat_load_b64 v[14:15], v[10:11]
	s_wait_loadcnt_dscnt 0x0
	v_mul_f32_e32 v11, s20, v15
	s_delay_alu instid0(VALU_DEP_1) | instskip(NEXT) | instid1(VALU_DEP_1)
	v_dual_mul_f32 v10, s21, v15 :: v_dual_fmac_f32 v11, s21, v14
	v_fma_f32 v10, s20, v14, -v10
.LBB4_19:                               ;   in Loop: Header=BB4_8 Depth=1
	v_add_co_u32 v14, vcc_lo, v0, v4
	s_wait_alu 0xfffd
	v_add_co_ci_u32_e64 v15, null, v20, v5, vcc_lo
	flat_store_b64 v[14:15], v[10:11]
.LBB4_20:                               ;   in Loop: Header=BB4_8 Depth=1
	s_wait_alu 0xfffe
	s_or_b32 exec_lo, exec_lo, s4
	s_cbranch_execnz .LBB4_7
.LBB4_21:                               ;   in Loop: Header=BB4_8 Depth=1
	v_dual_mov_b32 v11, 0 :: v_dual_mov_b32 v10, 0
	s_and_saveexec_b32 s36, s2
	s_cbranch_execz .LBB4_29
; %bb.22:                               ;   in Loop: Header=BB4_8 Depth=1
	v_mov_b32_e32 v11, 0
	v_add_co_u32 v12, vcc_lo, v12, v2
	s_wait_alu 0xfffd
	v_add_co_ci_u32_e64 v13, null, v13, v3, vcc_lo
	s_delay_alu instid0(VALU_DEP_3)
	v_dual_mov_b32 v21, v17 :: v_dual_mov_b32 v10, v11
	s_mov_b32 s37, 0
	s_branch .LBB4_25
.LBB4_23:                               ;   in Loop: Header=BB4_25 Depth=2
	s_wait_alu 0xfffe
	s_or_b32 exec_lo, exec_lo, s5
	flat_load_b64 v[23:24], v[12:13] offset:-4
	flat_load_b32 v14, v[14:15]
	s_wait_loadcnt_dscnt 0x101
	v_mul_f32_e32 v15, v22, v24
	s_wait_loadcnt_dscnt 0x0
	v_mul_f32_e32 v24, v14, v24
	s_delay_alu instid0(VALU_DEP_2) | instskip(NEXT) | instid1(VALU_DEP_2)
	v_fma_f32 v14, v14, v23, -v15
	v_fmac_f32_e32 v24, v22, v23
	s_delay_alu instid0(VALU_DEP_1)
	v_dual_add_f32 v10, v10, v14 :: v_dual_add_f32 v11, v11, v24
.LBB4_24:                               ;   in Loop: Header=BB4_25 Depth=2
	s_or_b32 exec_lo, exec_lo, s38
	v_add_nc_u32_e32 v21, 16, v21
	v_add_co_u32 v12, s4, v12, s10
	s_wait_alu 0xf1ff
	v_add_co_ci_u32_e64 v13, null, s11, v13, s4
	s_delay_alu instid0(VALU_DEP_3) | instskip(SKIP_1) | instid1(SALU_CYCLE_1)
	v_cmp_le_i32_e32 vcc_lo, s25, v21
	s_or_b32 s37, vcc_lo, s37
	s_and_not1_b32 exec_lo, exec_lo, s37
	s_cbranch_execz .LBB4_28
.LBB4_25:                               ;   Parent Loop BB4_8 Depth=1
                                        ; =>  This Inner Loop Header: Depth=2
	s_and_saveexec_b32 s38, s1
	s_cbranch_execz .LBB4_24
; %bb.26:                               ;   in Loop: Header=BB4_25 Depth=2
	v_cmp_le_i32_e32 vcc_lo, v16, v21
	v_cmp_ge_i32_e64 s4, v16, v21
	s_or_b32 s5, s35, vcc_lo
	s_or_b32 s4, s0, s4
	s_wait_alu 0xfffe
	s_and_b32 vcc_lo, s5, s4
	s_wait_alu 0xfffe
	v_dual_cndmask_b32 v22, v21, v16 :: v_dual_cndmask_b32 v23, v16, v21
	s_delay_alu instid0(VALU_DEP_1) | instskip(SKIP_1) | instid1(VALU_DEP_1)
	v_sub_nc_u32_e32 v14, s30, v23
	v_add_nc_u32_e32 v15, 1, v23
	v_cndmask_b32_e64 v14, v14, v15, s0
	s_delay_alu instid0(VALU_DEP_1) | instskip(SKIP_1) | instid1(VALU_DEP_1)
	v_mad_co_i64_i32 v[14:15], null, v14, v23, 0
	v_cndmask_b32_e64 v23, v23, 0, s0
	v_sub_nc_u32_e32 v22, v22, v23
	s_delay_alu instid0(VALU_DEP_3) | instskip(NEXT) | instid1(VALU_DEP_2)
	v_lshrrev_b32_e32 v24, 31, v15
	v_ashrrev_i32_e32 v23, 31, v22
	s_delay_alu instid0(VALU_DEP_2) | instskip(SKIP_2) | instid1(VALU_DEP_3)
	v_add_co_u32 v14, s4, v14, v24
	s_wait_alu 0xf1ff
	v_add_co_ci_u32_e64 v15, null, 0, v15, s4
	v_lshlrev_b64_e32 v[22:23], 3, v[22:23]
	s_delay_alu instid0(VALU_DEP_2) | instskip(NEXT) | instid1(VALU_DEP_1)
	v_lshlrev_b64_e32 v[14:15], 2, v[14:15]
	v_and_b32_e32 v14, -8, v14
	s_delay_alu instid0(VALU_DEP_1) | instskip(SKIP_1) | instid1(VALU_DEP_3)
	v_add_co_u32 v14, s4, v8, v14
	s_wait_alu 0xf1ff
	v_add_co_ci_u32_e64 v15, null, v9, v15, s4
	s_delay_alu instid0(VALU_DEP_2) | instskip(SKIP_1) | instid1(VALU_DEP_2)
	v_add_co_u32 v14, s5, v14, v22
	s_wait_alu 0xf1ff
	v_add_co_ci_u32_e64 v15, null, v15, v23, s5
	v_mov_b32_e32 v22, 0
	s_mov_b32 s5, exec_lo
	v_cmpx_ne_u32_e64 v16, v21
	s_cbranch_execz .LBB4_23
; %bb.27:                               ;   in Loop: Header=BB4_25 Depth=2
	flat_load_b32 v22, v[14:15] offset:4
	s_wait_loadcnt_dscnt 0x0
	v_cndmask_b32_e64 v22, -v22, v22, vcc_lo
	s_branch .LBB4_23
.LBB4_28:                               ;   in Loop: Header=BB4_8 Depth=1
	s_or_b32 exec_lo, exec_lo, s37
.LBB4_29:                               ;   in Loop: Header=BB4_8 Depth=1
	s_delay_alu instid0(SALU_CYCLE_1)
	s_or_b32 exec_lo, exec_lo, s36
	ds_store_b64 v18, v[10:11]
	s_wait_storecnt_dscnt 0x0
	s_barrier_signal -1
	s_barrier_wait -1
	global_inv scope:SCOPE_SE
	s_and_saveexec_b32 s4, s31
	s_cbranch_execz .LBB4_6
; %bb.30:                               ;   in Loop: Header=BB4_8 Depth=1
	ds_load_2addr_stride64_b64 v[8:11], v19 offset1:1
	ds_load_2addr_stride64_b64 v[12:15], v19 offset0:2 offset1:3
	ds_load_2addr_stride64_b64 v[21:24], v19 offset0:4 offset1:5
	s_wait_dscnt 0x2
	v_dual_add_f32 v25, v8, v10 :: v_dual_add_f32 v26, v9, v11
	ds_load_2addr_stride64_b64 v[8:11], v19 offset0:6 offset1:7
	s_wait_dscnt 0x2
	v_dual_add_f32 v12, v25, v12 :: v_dual_add_f32 v13, v26, v13
	s_delay_alu instid0(VALU_DEP_1) | instskip(SKIP_3) | instid1(VALU_DEP_1)
	v_dual_add_f32 v25, v12, v14 :: v_dual_add_f32 v26, v13, v15
	ds_load_2addr_stride64_b64 v[12:15], v19 offset0:8 offset1:9
	s_wait_dscnt 0x2
	v_dual_add_f32 v21, v25, v21 :: v_dual_add_f32 v22, v26, v22
	v_dual_add_f32 v25, v21, v23 :: v_dual_add_f32 v26, v22, v24
	ds_load_2addr_stride64_b64 v[21:24], v19 offset0:10 offset1:11
	s_wait_dscnt 0x2
	v_dual_add_f32 v8, v25, v8 :: v_dual_add_f32 v9, v26, v9
	s_delay_alu instid0(VALU_DEP_1) | instskip(SKIP_3) | instid1(VALU_DEP_1)
	v_dual_add_f32 v25, v8, v10 :: v_dual_add_f32 v26, v9, v11
	ds_load_2addr_stride64_b64 v[8:11], v19 offset0:12 offset1:13
	s_wait_dscnt 0x2
	v_dual_add_f32 v12, v25, v12 :: v_dual_add_f32 v13, v26, v13
	v_dual_add_f32 v25, v12, v14 :: v_dual_add_f32 v26, v13, v15
	ds_load_2addr_stride64_b64 v[12:15], v19 offset0:14 offset1:15
	s_wait_dscnt 0x2
	v_dual_add_f32 v21, v25, v21 :: v_dual_add_f32 v22, v26, v22
	ds_store_b64 v19, v[25:26]
	ds_store_b64 v19, v[21:22]
	v_dual_add_f32 v23, v21, v23 :: v_dual_add_f32 v24, v22, v24
	s_wait_dscnt 0x3
	s_delay_alu instid0(VALU_DEP_1) | instskip(NEXT) | instid1(VALU_DEP_1)
	v_dual_add_f32 v8, v23, v8 :: v_dual_add_f32 v9, v24, v9
	v_dual_add_f32 v27, v8, v10 :: v_dual_add_f32 v28, v9, v11
	s_wait_dscnt 0x2
	s_delay_alu instid0(VALU_DEP_1) | instskip(NEXT) | instid1(VALU_DEP_1)
	v_dual_add_f32 v12, v27, v12 :: v_dual_add_f32 v13, v28, v13
	v_dual_add_f32 v10, v12, v14 :: v_dual_add_f32 v11, v13, v15
	ds_store_b64 v19, v[23:24]
	ds_store_b64 v19, v[8:9]
	;; [unrolled: 1-line block ×5, first 2 shown]
	s_and_b32 exec_lo, exec_lo, s3
	s_cbranch_execz .LBB4_6
; %bb.31:                               ;   in Loop: Header=BB4_8 Depth=1
	v_mul_f32_e32 v9, s12, v11
	v_mul_f32_e32 v8, s13, v11
	s_and_not1_b32 vcc_lo, exec_lo, s34
	s_delay_alu instid0(VALU_DEP_2) | instskip(NEXT) | instid1(VALU_DEP_2)
	v_fmac_f32_e32 v9, s13, v10
	v_fma_f32 v8, v10, s12, -v8
	s_wait_alu 0xfffe
	s_cbranch_vccnz .LBB4_5
; %bb.32:                               ;   in Loop: Header=BB4_8 Depth=1
	v_add_co_u32 v10, vcc_lo, v0, v6
	s_wait_alu 0xfffd
	v_add_co_ci_u32_e64 v11, null, v20, v7, vcc_lo
	flat_load_b64 v[10:11], v[10:11]
	s_wait_loadcnt_dscnt 0x0
	v_mul_f32_e32 v12, s21, v11
	v_mul_f32_e32 v11, s20, v11
	s_delay_alu instid0(VALU_DEP_1) | instskip(NEXT) | instid1(VALU_DEP_3)
	v_fmac_f32_e32 v11, s21, v10
	v_fma_f32 v12, s20, v10, -v12
	s_delay_alu instid0(VALU_DEP_1)
	v_dual_add_f32 v9, v9, v11 :: v_dual_add_f32 v8, v8, v12
	s_branch .LBB4_5
.LBB4_33:
	s_endpgm
	.section	.rodata,"a",@progbits
	.p2align	6, 0x0
	.amdhsa_kernel _ZL19rocblas_hpmv_kernelILi64ELi16EPK19rocblas_complex_numIfEPKS3_PKPS1_EvbiT1_T2_llSA_lllS9_T3_llli
		.amdhsa_group_segment_fixed_size 8192
		.amdhsa_private_segment_fixed_size 0
		.amdhsa_kernarg_size 116
		.amdhsa_user_sgpr_count 2
		.amdhsa_user_sgpr_dispatch_ptr 0
		.amdhsa_user_sgpr_queue_ptr 0
		.amdhsa_user_sgpr_kernarg_segment_ptr 1
		.amdhsa_user_sgpr_dispatch_id 0
		.amdhsa_user_sgpr_private_segment_size 0
		.amdhsa_wavefront_size32 1
		.amdhsa_uses_dynamic_stack 0
		.amdhsa_enable_private_segment 0
		.amdhsa_system_sgpr_workgroup_id_x 1
		.amdhsa_system_sgpr_workgroup_id_y 0
		.amdhsa_system_sgpr_workgroup_id_z 1
		.amdhsa_system_sgpr_workgroup_info 0
		.amdhsa_system_vgpr_workitem_id 1
		.amdhsa_next_free_vgpr 29
		.amdhsa_next_free_sgpr 39
		.amdhsa_reserve_vcc 1
		.amdhsa_float_round_mode_32 0
		.amdhsa_float_round_mode_16_64 0
		.amdhsa_float_denorm_mode_32 3
		.amdhsa_float_denorm_mode_16_64 3
		.amdhsa_fp16_overflow 0
		.amdhsa_workgroup_processor_mode 1
		.amdhsa_memory_ordered 1
		.amdhsa_forward_progress 1
		.amdhsa_inst_pref_size 15
		.amdhsa_round_robin_scheduling 0
		.amdhsa_exception_fp_ieee_invalid_op 0
		.amdhsa_exception_fp_denorm_src 0
		.amdhsa_exception_fp_ieee_div_zero 0
		.amdhsa_exception_fp_ieee_overflow 0
		.amdhsa_exception_fp_ieee_underflow 0
		.amdhsa_exception_fp_ieee_inexact 0
		.amdhsa_exception_int_div_zero 0
	.end_amdhsa_kernel
	.section	.text._ZL19rocblas_hpmv_kernelILi64ELi16EPK19rocblas_complex_numIfEPKS3_PKPS1_EvbiT1_T2_llSA_lllS9_T3_llli,"axG",@progbits,_ZL19rocblas_hpmv_kernelILi64ELi16EPK19rocblas_complex_numIfEPKS3_PKPS1_EvbiT1_T2_llSA_lllS9_T3_llli,comdat
.Lfunc_end4:
	.size	_ZL19rocblas_hpmv_kernelILi64ELi16EPK19rocblas_complex_numIfEPKS3_PKPS1_EvbiT1_T2_llSA_lllS9_T3_llli, .Lfunc_end4-_ZL19rocblas_hpmv_kernelILi64ELi16EPK19rocblas_complex_numIfEPKS3_PKPS1_EvbiT1_T2_llSA_lllS9_T3_llli
                                        ; -- End function
	.set _ZL19rocblas_hpmv_kernelILi64ELi16EPK19rocblas_complex_numIfEPKS3_PKPS1_EvbiT1_T2_llSA_lllS9_T3_llli.num_vgpr, 29
	.set _ZL19rocblas_hpmv_kernelILi64ELi16EPK19rocblas_complex_numIfEPKS3_PKPS1_EvbiT1_T2_llSA_lllS9_T3_llli.num_agpr, 0
	.set _ZL19rocblas_hpmv_kernelILi64ELi16EPK19rocblas_complex_numIfEPKS3_PKPS1_EvbiT1_T2_llSA_lllS9_T3_llli.numbered_sgpr, 39
	.set _ZL19rocblas_hpmv_kernelILi64ELi16EPK19rocblas_complex_numIfEPKS3_PKPS1_EvbiT1_T2_llSA_lllS9_T3_llli.num_named_barrier, 0
	.set _ZL19rocblas_hpmv_kernelILi64ELi16EPK19rocblas_complex_numIfEPKS3_PKPS1_EvbiT1_T2_llSA_lllS9_T3_llli.private_seg_size, 0
	.set _ZL19rocblas_hpmv_kernelILi64ELi16EPK19rocblas_complex_numIfEPKS3_PKPS1_EvbiT1_T2_llSA_lllS9_T3_llli.uses_vcc, 1
	.set _ZL19rocblas_hpmv_kernelILi64ELi16EPK19rocblas_complex_numIfEPKS3_PKPS1_EvbiT1_T2_llSA_lllS9_T3_llli.uses_flat_scratch, 0
	.set _ZL19rocblas_hpmv_kernelILi64ELi16EPK19rocblas_complex_numIfEPKS3_PKPS1_EvbiT1_T2_llSA_lllS9_T3_llli.has_dyn_sized_stack, 0
	.set _ZL19rocblas_hpmv_kernelILi64ELi16EPK19rocblas_complex_numIfEPKS3_PKPS1_EvbiT1_T2_llSA_lllS9_T3_llli.has_recursion, 0
	.set _ZL19rocblas_hpmv_kernelILi64ELi16EPK19rocblas_complex_numIfEPKS3_PKPS1_EvbiT1_T2_llSA_lllS9_T3_llli.has_indirect_call, 0
	.section	.AMDGPU.csdata,"",@progbits
; Kernel info:
; codeLenInByte = 1832
; TotalNumSgprs: 41
; NumVgprs: 29
; ScratchSize: 0
; MemoryBound: 0
; FloatMode: 240
; IeeeMode: 1
; LDSByteSize: 8192 bytes/workgroup (compile time only)
; SGPRBlocks: 0
; VGPRBlocks: 3
; NumSGPRsForWavesPerEU: 41
; NumVGPRsForWavesPerEU: 29
; Occupancy: 16
; WaveLimiterHint : 1
; COMPUTE_PGM_RSRC2:SCRATCH_EN: 0
; COMPUTE_PGM_RSRC2:USER_SGPR: 2
; COMPUTE_PGM_RSRC2:TRAP_HANDLER: 0
; COMPUTE_PGM_RSRC2:TGID_X_EN: 1
; COMPUTE_PGM_RSRC2:TGID_Y_EN: 0
; COMPUTE_PGM_RSRC2:TGID_Z_EN: 1
; COMPUTE_PGM_RSRC2:TIDIG_COMP_CNT: 1
	.section	.text._ZL19rocblas_hpmv_kernelILi64ELi16E19rocblas_complex_numIfEPKPKS1_PKPS1_EvbiT1_T2_llSA_lllS9_T3_llli,"axG",@progbits,_ZL19rocblas_hpmv_kernelILi64ELi16E19rocblas_complex_numIfEPKPKS1_PKPS1_EvbiT1_T2_llSA_lllS9_T3_llli,comdat
	.globl	_ZL19rocblas_hpmv_kernelILi64ELi16E19rocblas_complex_numIfEPKPKS1_PKPS1_EvbiT1_T2_llSA_lllS9_T3_llli ; -- Begin function _ZL19rocblas_hpmv_kernelILi64ELi16E19rocblas_complex_numIfEPKPKS1_PKPS1_EvbiT1_T2_llSA_lllS9_T3_llli
	.p2align	8
	.type	_ZL19rocblas_hpmv_kernelILi64ELi16E19rocblas_complex_numIfEPKPKS1_PKPS1_EvbiT1_T2_llSA_lllS9_T3_llli,@function
_ZL19rocblas_hpmv_kernelILi64ELi16E19rocblas_complex_numIfEPKPKS1_PKPS1_EvbiT1_T2_llSA_lllS9_T3_llli: ; @_ZL19rocblas_hpmv_kernelILi64ELi16E19rocblas_complex_numIfEPKPKS1_PKPS1_EvbiT1_T2_llSA_lllS9_T3_llli
; %bb.0:
	s_clause 0x1
	s_load_b128 s[8:11], s[0:1], 0x0
	s_load_b64 s[6:7], s[0:1], 0x48
	s_wait_kmcnt 0x0
	s_cmp_neq_f32 s10, 0
	s_cselect_b32 s2, -1, 0
	s_cmp_neq_f32 s11, 0
	s_cselect_b32 s3, -1, 0
	s_delay_alu instid0(SALU_CYCLE_1) | instskip(NEXT) | instid1(SALU_CYCLE_1)
	s_or_b32 s2, s2, s3
	s_and_b32 vcc_lo, exec_lo, s2
	s_mov_b32 s2, -1
	s_cbranch_vccnz .LBB5_2
; %bb.1:
	s_cmp_neq_f32 s6, 1.0
	s_cselect_b32 s2, -1, 0
	s_cmp_neq_f32 s7, 0
	s_cselect_b32 s3, -1, 0
	s_delay_alu instid0(SALU_CYCLE_1)
	s_or_b32 s2, s2, s3
.LBB5_2:
	s_delay_alu instid0(SALU_CYCLE_1)
	s_and_not1_b32 vcc_lo, exec_lo, s2
	s_cbranch_vccnz .LBB5_33
; %bb.3:
	s_load_b32 s28, s[0:1], 0x70
	s_lshr_b32 s24, ttmp7, 16
	s_wait_kmcnt 0x0
	s_cmp_ge_u32 s24, s28
	s_cbranch_scc1 .LBB5_33
; %bb.4:
	s_load_b64 s[4:5], s[0:1], 0x60
	v_bfe_u32 v2, v0, 10, 10
	s_clause 0x1
	s_load_b64 s[26:27], s[0:1], 0x38
	s_load_b128 s[20:23], s[0:1], 0x50
	v_and_b32_e32 v11, 0x3ff, v0
	v_and_b32_e32 v13, 63, v0
	v_add_nc_u32_e32 v1, ttmp9, v2
	s_bitcmp1_b32 s8, 0
	s_clause 0x1
	s_load_b128 s[12:15], s[0:1], 0x10
	s_load_b128 s[16:19], s[0:1], 0x28
	v_lshl_add_u32 v12, v2, 6, v11
	s_cselect_b32 s2, -1, 0
	v_lshl_add_u32 v1, v1, 6, v11
	s_or_b32 s3, s10, s11
	s_mov_b32 s25, 0
	v_lshrrev_b32_e32 v15, 6, v12
	s_bitset0_b32 s3, 31
	v_ashrrev_i32_e32 v3, 31, v1
	s_cmp_lg_u32 s3, 0
	v_cmp_gt_i32_e32 vcc_lo, s9, v1
	s_cselect_b32 s8, -1, 0
	s_cmp_eq_u32 s3, 0
	s_wait_kmcnt 0x0
	v_mul_lo_u32 v7, s4, v3
	v_mad_co_u64_u32 v[3:4], null, s26, v15, 0
	v_mul_lo_u32 v14, s5, v1
	v_mad_co_u64_u32 v[5:6], null, s4, v1, 0
	s_cselect_b32 s29, -1, 0
	s_cmp_neq_f32 s6, 0
	v_cmp_gt_u32_e64 s3, 64, v12
	v_mov_b32_e32 v0, v4
	v_cmp_gt_i32_e64 s1, s9, v15
	s_cselect_b32 s34, -1, 0
	s_cmp_neq_f32 s7, 0
	v_add3_u32 v8, v6, v7, v14
	v_mad_co_u64_u32 v[9:10], null, s27, v15, v[0:1]
	v_dual_mov_b32 v7, v5 :: v_dual_add_nc_u32 v6, v6, v14
	s_cselect_b32 s35, -1, 0
	s_lshl_b32 s4, s9, 1
	s_ashr_i32 s5, s9, 31
	s_wait_alu 0xfffe
	s_or_b32 s30, s4, 1
	s_delay_alu instid0(VALU_DEP_2) | instskip(SKIP_3) | instid1(VALU_DEP_4)
	v_dual_mov_b32 v4, v9 :: v_dual_lshlrev_b32 v9, 9, v2
	v_mov_b32_e32 v2, 0
	v_lshl_or_b32 v16, ttmp9, 6, v13
	v_and_or_b32 v0, 0x1ffc0, v12, v13
	v_lshlrev_b64_e32 v[3:4], 3, v[3:4]
	s_mov_b32 s4, s9
	v_lshlrev_b64_e32 v[5:6], 3, v[5:6]
	v_cmp_gt_i32_e64 s0, s9, v16
	v_lshlrev_b32_e32 v17, 3, v0
	v_lshlrev_b32_e32 v0, 3, v11
	v_or_b32_e32 v3, 4, v3
	s_lshl_b64 s[26:27], s[26:27], 7
	s_and_b32 s31, s3, s0
	s_wait_alu 0xfffe
	v_cmp_gt_i64_e64 s3, s[4:5], v[1:2]
	v_add_nc_u32_e32 v18, v0, v9
	v_lshlrev_b64_e32 v[0:1], 3, v[7:8]
	s_and_b32 s33, s31, vcc_lo
	s_lshl_b64 s[14:15], s[14:15], 3
	s_or_b32 s34, s34, s35
	s_lshl_b64 s[18:19], s[18:19], 3
	s_lshl_b64 s[22:23], s[22:23], 3
	s_xor_b32 s35, s2, -1
	s_branch .LBB5_8
.LBB5_5:                                ;   in Loop: Header=BB5_8 Depth=1
	v_add_co_u32 v9, vcc_lo, v19, v5
	s_wait_alu 0xfffd
	v_add_co_ci_u32_e64 v10, null, v20, v6, vcc_lo
	flat_store_b64 v[9:10], v[7:8]
.LBB5_6:                                ;   in Loop: Header=BB5_8 Depth=1
	s_wait_alu 0xfffe
	s_or_b32 exec_lo, exec_lo, s4
.LBB5_7:                                ;   in Loop: Header=BB5_8 Depth=1
	s_add_co_i32 s24, s24, 0x10000
	s_delay_alu instid0(SALU_CYCLE_1)
	s_cmp_lt_u32 s24, s28
	s_cbranch_scc0 .LBB5_33
.LBB5_8:                                ; =>This Loop Header: Depth=1
                                        ;     Child Loop BB5_25 Depth 2
	s_and_not1_b32 vcc_lo, exec_lo, s29
	s_mov_b32 s4, -1
	s_wait_alu 0xfffe
	s_cbranch_vccnz .LBB5_10
; %bb.9:                                ;   in Loop: Header=BB5_8 Depth=1
	s_mov_b32 s4, 0
.LBB5_10:                               ;   in Loop: Header=BB5_8 Depth=1
	v_mov_b32_e32 v11, 0
	v_dual_mov_b32 v12, 0 :: v_dual_mov_b32 v7, 0
	v_mov_b32_e32 v8, 0
	s_wait_alu 0xfffe
	s_and_not1_b32 vcc_lo, exec_lo, s4
	s_wait_alu 0xfffe
	s_cbranch_vccnz .LBB5_12
; %bb.11:                               ;   in Loop: Header=BB5_8 Depth=1
	s_lshl_b64 s[4:5], s[24:25], 3
	s_wait_alu 0xfffe
	s_add_nc_u64 s[4:5], s[12:13], s[4:5]
	global_load_b64 v[7:8], v2, s[4:5]
	s_wait_loadcnt 0x0
	v_add_co_u32 v7, vcc_lo, v7, s14
	s_wait_alu 0xfffd
	v_add_co_ci_u32_e64 v8, null, s15, v8, vcc_lo
.LBB5_12:                               ;   in Loop: Header=BB5_8 Depth=1
	s_and_not1_b32 vcc_lo, exec_lo, s8
	s_wait_alu 0xfffe
	s_cbranch_vccnz .LBB5_14
; %bb.13:                               ;   in Loop: Header=BB5_8 Depth=1
	s_lshl_b64 s[4:5], s[24:25], 3
	s_wait_alu 0xfffe
	s_add_nc_u64 s[4:5], s[16:17], s[4:5]
	global_load_b64 v[9:10], v2, s[4:5]
	s_wait_loadcnt 0x0
	v_add_co_u32 v11, vcc_lo, v9, s18
	s_wait_alu 0xfffd
	v_add_co_ci_u32_e64 v12, null, s19, v10, vcc_lo
.LBB5_14:                               ;   in Loop: Header=BB5_8 Depth=1
	s_lshl_b64 s[4:5], s[24:25], 3
	s_wait_alu 0xfffe
	s_add_nc_u64 s[4:5], s[20:21], s[4:5]
	global_load_b64 v[9:10], v2, s[4:5]
	s_mov_b32 s4, -1
	s_wait_loadcnt 0x0
	v_add_co_u32 v19, vcc_lo, v9, s22
	s_wait_alu 0xfffd
	v_add_co_ci_u32_e64 v20, null, s23, v10, vcc_lo
	s_and_not1_b32 vcc_lo, exec_lo, s29
	s_wait_alu 0xfffe
	s_cbranch_vccz .LBB5_16
; %bb.15:                               ;   in Loop: Header=BB5_8 Depth=1
	s_and_not1_b32 vcc_lo, exec_lo, s4
	s_wait_alu 0xfffe
	s_cbranch_vccnz .LBB5_7
	s_branch .LBB5_21
.LBB5_16:                               ;   in Loop: Header=BB5_8 Depth=1
	s_and_saveexec_b32 s4, s33
	s_cbranch_execz .LBB5_20
; %bb.17:                               ;   in Loop: Header=BB5_8 Depth=1
	v_dual_mov_b32 v9, 0 :: v_dual_mov_b32 v10, 0
	s_and_not1_b32 vcc_lo, exec_lo, s34
	s_wait_alu 0xfffe
	s_cbranch_vccnz .LBB5_19
; %bb.18:                               ;   in Loop: Header=BB5_8 Depth=1
	v_add_co_u32 v9, vcc_lo, v19, v0
	s_wait_alu 0xfffd
	v_add_co_ci_u32_e64 v10, null, v20, v1, vcc_lo
	flat_load_b64 v[13:14], v[9:10]
	s_wait_loadcnt_dscnt 0x0
	v_mul_f32_e32 v10, s6, v14
	s_delay_alu instid0(VALU_DEP_1) | instskip(NEXT) | instid1(VALU_DEP_1)
	v_dual_mul_f32 v9, s7, v14 :: v_dual_fmac_f32 v10, s7, v13
	v_fma_f32 v9, s6, v13, -v9
.LBB5_19:                               ;   in Loop: Header=BB5_8 Depth=1
	v_add_co_u32 v13, vcc_lo, v19, v0
	s_wait_alu 0xfffd
	v_add_co_ci_u32_e64 v14, null, v20, v1, vcc_lo
	flat_store_b64 v[13:14], v[9:10]
.LBB5_20:                               ;   in Loop: Header=BB5_8 Depth=1
	s_wait_alu 0xfffe
	s_or_b32 exec_lo, exec_lo, s4
	s_cbranch_execnz .LBB5_7
.LBB5_21:                               ;   in Loop: Header=BB5_8 Depth=1
	v_dual_mov_b32 v10, 0 :: v_dual_mov_b32 v9, 0
	s_and_saveexec_b32 s36, s1
	s_cbranch_execz .LBB5_29
; %bb.22:                               ;   in Loop: Header=BB5_8 Depth=1
	v_dual_mov_b32 v10, 0 :: v_dual_mov_b32 v21, v15
	v_add_co_u32 v11, vcc_lo, v11, v3
	s_wait_alu 0xfffd
	v_add_co_ci_u32_e64 v12, null, v12, v4, vcc_lo
	s_delay_alu instid0(VALU_DEP_3)
	v_mov_b32_e32 v9, v10
	s_mov_b32 s37, 0
	s_branch .LBB5_25
.LBB5_23:                               ;   in Loop: Header=BB5_25 Depth=2
	s_wait_alu 0xfffe
	s_or_b32 exec_lo, exec_lo, s5
	flat_load_b64 v[23:24], v[11:12] offset:-4
	flat_load_b32 v13, v[13:14]
	s_wait_loadcnt_dscnt 0x101
	v_mul_f32_e32 v14, v22, v24
	s_wait_loadcnt_dscnt 0x0
	v_mul_f32_e32 v24, v13, v24
	s_delay_alu instid0(VALU_DEP_2) | instskip(NEXT) | instid1(VALU_DEP_1)
	v_fma_f32 v13, v13, v23, -v14
	v_dual_fmac_f32 v24, v22, v23 :: v_dual_add_f32 v9, v9, v13
	s_delay_alu instid0(VALU_DEP_1)
	v_add_f32_e32 v10, v10, v24
.LBB5_24:                               ;   in Loop: Header=BB5_25 Depth=2
	s_or_b32 exec_lo, exec_lo, s38
	v_add_nc_u32_e32 v21, 16, v21
	v_add_co_u32 v11, s4, v11, s26
	s_wait_alu 0xf1ff
	v_add_co_ci_u32_e64 v12, null, s27, v12, s4
	s_delay_alu instid0(VALU_DEP_3) | instskip(SKIP_1) | instid1(SALU_CYCLE_1)
	v_cmp_le_i32_e32 vcc_lo, s9, v21
	s_or_b32 s37, vcc_lo, s37
	s_and_not1_b32 exec_lo, exec_lo, s37
	s_cbranch_execz .LBB5_28
.LBB5_25:                               ;   Parent Loop BB5_8 Depth=1
                                        ; =>  This Inner Loop Header: Depth=2
	s_and_saveexec_b32 s38, s0
	s_cbranch_execz .LBB5_24
; %bb.26:                               ;   in Loop: Header=BB5_25 Depth=2
	v_cmp_le_i32_e32 vcc_lo, v16, v21
	v_cmp_ge_i32_e64 s4, v16, v21
	s_or_b32 s5, s35, vcc_lo
	s_or_b32 s4, s2, s4
	s_wait_alu 0xfffe
	s_and_b32 vcc_lo, s5, s4
	s_wait_alu 0xfffe
	v_dual_cndmask_b32 v22, v21, v16 :: v_dual_cndmask_b32 v23, v16, v21
	s_delay_alu instid0(VALU_DEP_1) | instskip(SKIP_1) | instid1(VALU_DEP_1)
	v_sub_nc_u32_e32 v13, s30, v23
	v_add_nc_u32_e32 v14, 1, v23
	v_cndmask_b32_e64 v13, v13, v14, s2
	s_delay_alu instid0(VALU_DEP_1) | instskip(SKIP_1) | instid1(VALU_DEP_1)
	v_mad_co_i64_i32 v[13:14], null, v13, v23, 0
	v_cndmask_b32_e64 v23, v23, 0, s2
	v_sub_nc_u32_e32 v22, v22, v23
	s_delay_alu instid0(VALU_DEP_3) | instskip(NEXT) | instid1(VALU_DEP_2)
	v_lshrrev_b32_e32 v24, 31, v14
	v_ashrrev_i32_e32 v23, 31, v22
	s_delay_alu instid0(VALU_DEP_2) | instskip(SKIP_2) | instid1(VALU_DEP_3)
	v_add_co_u32 v13, s4, v13, v24
	s_wait_alu 0xf1ff
	v_add_co_ci_u32_e64 v14, null, 0, v14, s4
	v_lshlrev_b64_e32 v[22:23], 3, v[22:23]
	s_delay_alu instid0(VALU_DEP_2) | instskip(NEXT) | instid1(VALU_DEP_1)
	v_lshlrev_b64_e32 v[13:14], 2, v[13:14]
	v_and_b32_e32 v13, -8, v13
	s_delay_alu instid0(VALU_DEP_1) | instskip(SKIP_1) | instid1(VALU_DEP_3)
	v_add_co_u32 v13, s4, v7, v13
	s_wait_alu 0xf1ff
	v_add_co_ci_u32_e64 v14, null, v8, v14, s4
	s_delay_alu instid0(VALU_DEP_2) | instskip(SKIP_1) | instid1(VALU_DEP_2)
	v_add_co_u32 v13, s5, v13, v22
	s_wait_alu 0xf1ff
	v_add_co_ci_u32_e64 v14, null, v14, v23, s5
	v_mov_b32_e32 v22, 0
	s_mov_b32 s5, exec_lo
	v_cmpx_ne_u32_e64 v16, v21
	s_cbranch_execz .LBB5_23
; %bb.27:                               ;   in Loop: Header=BB5_25 Depth=2
	flat_load_b32 v22, v[13:14] offset:4
	s_wait_loadcnt_dscnt 0x0
	v_cndmask_b32_e64 v22, -v22, v22, vcc_lo
	s_branch .LBB5_23
.LBB5_28:                               ;   in Loop: Header=BB5_8 Depth=1
	s_or_b32 exec_lo, exec_lo, s37
.LBB5_29:                               ;   in Loop: Header=BB5_8 Depth=1
	s_delay_alu instid0(SALU_CYCLE_1)
	s_or_b32 exec_lo, exec_lo, s36
	ds_store_b64 v17, v[9:10]
	s_wait_storecnt_dscnt 0x0
	s_barrier_signal -1
	s_barrier_wait -1
	global_inv scope:SCOPE_SE
	s_and_saveexec_b32 s4, s31
	s_cbranch_execz .LBB5_6
; %bb.30:                               ;   in Loop: Header=BB5_8 Depth=1
	ds_load_2addr_stride64_b64 v[7:10], v18 offset1:1
	ds_load_2addr_stride64_b64 v[11:14], v18 offset0:2 offset1:3
	ds_load_2addr_stride64_b64 v[21:24], v18 offset0:4 offset1:5
	s_wait_dscnt 0x2
	v_dual_add_f32 v25, v7, v9 :: v_dual_add_f32 v26, v8, v10
	ds_load_2addr_stride64_b64 v[7:10], v18 offset0:6 offset1:7
	s_wait_dscnt 0x2
	v_dual_add_f32 v11, v25, v11 :: v_dual_add_f32 v12, v26, v12
	s_delay_alu instid0(VALU_DEP_1) | instskip(SKIP_3) | instid1(VALU_DEP_1)
	v_dual_add_f32 v25, v11, v13 :: v_dual_add_f32 v26, v12, v14
	ds_load_2addr_stride64_b64 v[11:14], v18 offset0:8 offset1:9
	s_wait_dscnt 0x2
	v_dual_add_f32 v21, v25, v21 :: v_dual_add_f32 v22, v26, v22
	v_dual_add_f32 v25, v21, v23 :: v_dual_add_f32 v26, v22, v24
	ds_load_2addr_stride64_b64 v[21:24], v18 offset0:10 offset1:11
	s_wait_dscnt 0x2
	v_dual_add_f32 v7, v25, v7 :: v_dual_add_f32 v8, v26, v8
	s_delay_alu instid0(VALU_DEP_1) | instskip(SKIP_3) | instid1(VALU_DEP_1)
	v_dual_add_f32 v25, v7, v9 :: v_dual_add_f32 v26, v8, v10
	ds_load_2addr_stride64_b64 v[7:10], v18 offset0:12 offset1:13
	s_wait_dscnt 0x2
	v_dual_add_f32 v11, v25, v11 :: v_dual_add_f32 v12, v26, v12
	v_dual_add_f32 v25, v11, v13 :: v_dual_add_f32 v26, v12, v14
	ds_load_2addr_stride64_b64 v[11:14], v18 offset0:14 offset1:15
	s_wait_dscnt 0x2
	v_dual_add_f32 v21, v25, v21 :: v_dual_add_f32 v22, v26, v22
	ds_store_b64 v18, v[25:26]
	ds_store_b64 v18, v[21:22]
	v_dual_add_f32 v23, v21, v23 :: v_dual_add_f32 v24, v22, v24
	s_wait_dscnt 0x3
	s_delay_alu instid0(VALU_DEP_1) | instskip(NEXT) | instid1(VALU_DEP_1)
	v_dual_add_f32 v7, v23, v7 :: v_dual_add_f32 v8, v24, v8
	v_dual_add_f32 v27, v7, v9 :: v_dual_add_f32 v28, v8, v10
	s_wait_dscnt 0x2
	s_delay_alu instid0(VALU_DEP_1) | instskip(NEXT) | instid1(VALU_DEP_1)
	v_dual_add_f32 v11, v27, v11 :: v_dual_add_f32 v12, v28, v12
	v_dual_add_f32 v9, v11, v13 :: v_dual_add_f32 v10, v12, v14
	ds_store_b64 v18, v[23:24]
	ds_store_b64 v18, v[7:8]
	;; [unrolled: 1-line block ×5, first 2 shown]
	s_and_b32 exec_lo, exec_lo, s3
	s_cbranch_execz .LBB5_6
; %bb.31:                               ;   in Loop: Header=BB5_8 Depth=1
	v_mul_f32_e32 v8, s10, v10
	v_mul_f32_e32 v7, s11, v10
	s_and_not1_b32 vcc_lo, exec_lo, s34
	s_delay_alu instid0(VALU_DEP_2) | instskip(NEXT) | instid1(VALU_DEP_2)
	v_fmac_f32_e32 v8, s11, v9
	v_fma_f32 v7, v9, s10, -v7
	s_wait_alu 0xfffe
	s_cbranch_vccnz .LBB5_5
; %bb.32:                               ;   in Loop: Header=BB5_8 Depth=1
	v_add_co_u32 v9, vcc_lo, v19, v5
	s_wait_alu 0xfffd
	v_add_co_ci_u32_e64 v10, null, v20, v6, vcc_lo
	flat_load_b64 v[9:10], v[9:10]
	s_wait_loadcnt_dscnt 0x0
	v_mul_f32_e32 v11, s7, v10
	v_mul_f32_e32 v10, s6, v10
	s_delay_alu instid0(VALU_DEP_1) | instskip(NEXT) | instid1(VALU_DEP_3)
	v_fmac_f32_e32 v10, s7, v9
	v_fma_f32 v11, s6, v9, -v11
	s_delay_alu instid0(VALU_DEP_1)
	v_dual_add_f32 v8, v8, v10 :: v_dual_add_f32 v7, v7, v11
	s_branch .LBB5_5
.LBB5_33:
	s_endpgm
	.section	.rodata,"a",@progbits
	.p2align	6, 0x0
	.amdhsa_kernel _ZL19rocblas_hpmv_kernelILi64ELi16E19rocblas_complex_numIfEPKPKS1_PKPS1_EvbiT1_T2_llSA_lllS9_T3_llli
		.amdhsa_group_segment_fixed_size 8192
		.amdhsa_private_segment_fixed_size 0
		.amdhsa_kernarg_size 116
		.amdhsa_user_sgpr_count 2
		.amdhsa_user_sgpr_dispatch_ptr 0
		.amdhsa_user_sgpr_queue_ptr 0
		.amdhsa_user_sgpr_kernarg_segment_ptr 1
		.amdhsa_user_sgpr_dispatch_id 0
		.amdhsa_user_sgpr_private_segment_size 0
		.amdhsa_wavefront_size32 1
		.amdhsa_uses_dynamic_stack 0
		.amdhsa_enable_private_segment 0
		.amdhsa_system_sgpr_workgroup_id_x 1
		.amdhsa_system_sgpr_workgroup_id_y 0
		.amdhsa_system_sgpr_workgroup_id_z 1
		.amdhsa_system_sgpr_workgroup_info 0
		.amdhsa_system_vgpr_workitem_id 1
		.amdhsa_next_free_vgpr 29
		.amdhsa_next_free_sgpr 39
		.amdhsa_reserve_vcc 1
		.amdhsa_float_round_mode_32 0
		.amdhsa_float_round_mode_16_64 0
		.amdhsa_float_denorm_mode_32 3
		.amdhsa_float_denorm_mode_16_64 3
		.amdhsa_fp16_overflow 0
		.amdhsa_workgroup_processor_mode 1
		.amdhsa_memory_ordered 1
		.amdhsa_forward_progress 1
		.amdhsa_inst_pref_size 15
		.amdhsa_round_robin_scheduling 0
		.amdhsa_exception_fp_ieee_invalid_op 0
		.amdhsa_exception_fp_denorm_src 0
		.amdhsa_exception_fp_ieee_div_zero 0
		.amdhsa_exception_fp_ieee_overflow 0
		.amdhsa_exception_fp_ieee_underflow 0
		.amdhsa_exception_fp_ieee_inexact 0
		.amdhsa_exception_int_div_zero 0
	.end_amdhsa_kernel
	.section	.text._ZL19rocblas_hpmv_kernelILi64ELi16E19rocblas_complex_numIfEPKPKS1_PKPS1_EvbiT1_T2_llSA_lllS9_T3_llli,"axG",@progbits,_ZL19rocblas_hpmv_kernelILi64ELi16E19rocblas_complex_numIfEPKPKS1_PKPS1_EvbiT1_T2_llSA_lllS9_T3_llli,comdat
.Lfunc_end5:
	.size	_ZL19rocblas_hpmv_kernelILi64ELi16E19rocblas_complex_numIfEPKPKS1_PKPS1_EvbiT1_T2_llSA_lllS9_T3_llli, .Lfunc_end5-_ZL19rocblas_hpmv_kernelILi64ELi16E19rocblas_complex_numIfEPKPKS1_PKPS1_EvbiT1_T2_llSA_lllS9_T3_llli
                                        ; -- End function
	.set _ZL19rocblas_hpmv_kernelILi64ELi16E19rocblas_complex_numIfEPKPKS1_PKPS1_EvbiT1_T2_llSA_lllS9_T3_llli.num_vgpr, 29
	.set _ZL19rocblas_hpmv_kernelILi64ELi16E19rocblas_complex_numIfEPKPKS1_PKPS1_EvbiT1_T2_llSA_lllS9_T3_llli.num_agpr, 0
	.set _ZL19rocblas_hpmv_kernelILi64ELi16E19rocblas_complex_numIfEPKPKS1_PKPS1_EvbiT1_T2_llSA_lllS9_T3_llli.numbered_sgpr, 39
	.set _ZL19rocblas_hpmv_kernelILi64ELi16E19rocblas_complex_numIfEPKPKS1_PKPS1_EvbiT1_T2_llSA_lllS9_T3_llli.num_named_barrier, 0
	.set _ZL19rocblas_hpmv_kernelILi64ELi16E19rocblas_complex_numIfEPKPKS1_PKPS1_EvbiT1_T2_llSA_lllS9_T3_llli.private_seg_size, 0
	.set _ZL19rocblas_hpmv_kernelILi64ELi16E19rocblas_complex_numIfEPKPKS1_PKPS1_EvbiT1_T2_llSA_lllS9_T3_llli.uses_vcc, 1
	.set _ZL19rocblas_hpmv_kernelILi64ELi16E19rocblas_complex_numIfEPKPKS1_PKPS1_EvbiT1_T2_llSA_lllS9_T3_llli.uses_flat_scratch, 0
	.set _ZL19rocblas_hpmv_kernelILi64ELi16E19rocblas_complex_numIfEPKPKS1_PKPS1_EvbiT1_T2_llSA_lllS9_T3_llli.has_dyn_sized_stack, 0
	.set _ZL19rocblas_hpmv_kernelILi64ELi16E19rocblas_complex_numIfEPKPKS1_PKPS1_EvbiT1_T2_llSA_lllS9_T3_llli.has_recursion, 0
	.set _ZL19rocblas_hpmv_kernelILi64ELi16E19rocblas_complex_numIfEPKPKS1_PKPS1_EvbiT1_T2_llSA_lllS9_T3_llli.has_indirect_call, 0
	.section	.AMDGPU.csdata,"",@progbits
; Kernel info:
; codeLenInByte = 1812
; TotalNumSgprs: 41
; NumVgprs: 29
; ScratchSize: 0
; MemoryBound: 0
; FloatMode: 240
; IeeeMode: 1
; LDSByteSize: 8192 bytes/workgroup (compile time only)
; SGPRBlocks: 0
; VGPRBlocks: 3
; NumSGPRsForWavesPerEU: 41
; NumVGPRsForWavesPerEU: 29
; Occupancy: 16
; WaveLimiterHint : 1
; COMPUTE_PGM_RSRC2:SCRATCH_EN: 0
; COMPUTE_PGM_RSRC2:USER_SGPR: 2
; COMPUTE_PGM_RSRC2:TRAP_HANDLER: 0
; COMPUTE_PGM_RSRC2:TGID_X_EN: 1
; COMPUTE_PGM_RSRC2:TGID_Y_EN: 0
; COMPUTE_PGM_RSRC2:TGID_Z_EN: 1
; COMPUTE_PGM_RSRC2:TIDIG_COMP_CNT: 1
	.section	.text._ZL19rocblas_hpmv_kernelILi64ELi16EPK19rocblas_complex_numIdEPKS3_PKPS1_EvbiT1_T2_llSA_lllS9_T3_llli,"axG",@progbits,_ZL19rocblas_hpmv_kernelILi64ELi16EPK19rocblas_complex_numIdEPKS3_PKPS1_EvbiT1_T2_llSA_lllS9_T3_llli,comdat
	.globl	_ZL19rocblas_hpmv_kernelILi64ELi16EPK19rocblas_complex_numIdEPKS3_PKPS1_EvbiT1_T2_llSA_lllS9_T3_llli ; -- Begin function _ZL19rocblas_hpmv_kernelILi64ELi16EPK19rocblas_complex_numIdEPKS3_PKPS1_EvbiT1_T2_llSA_lllS9_T3_llli
	.p2align	8
	.type	_ZL19rocblas_hpmv_kernelILi64ELi16EPK19rocblas_complex_numIdEPKS3_PKPS1_EvbiT1_T2_llSA_lllS9_T3_llli,@function
_ZL19rocblas_hpmv_kernelILi64ELi16EPK19rocblas_complex_numIdEPKS3_PKPS1_EvbiT1_T2_llSA_lllS9_T3_llli: ; @_ZL19rocblas_hpmv_kernelILi64ELi16EPK19rocblas_complex_numIdEPKS3_PKPS1_EvbiT1_T2_llSA_lllS9_T3_llli
; %bb.0:
	s_clause 0x1
	s_load_b128 s[12:15], s[0:1], 0x8
	s_load_b256 s[4:11], s[0:1], 0x48
	s_wait_kmcnt 0x0
	s_load_b128 s[16:19], s[12:13], 0x0
	s_load_b128 s[20:23], s[4:5], 0x0
	s_wait_kmcnt 0x0
	v_cmp_neq_f64_e64 s2, s[16:17], 0
	v_cmp_neq_f64_e64 s3, s[18:19], 0
	s_or_b32 s33, s2, s3
	s_mov_b32 s2, -1
	s_and_b32 vcc_lo, exec_lo, s33
	s_cbranch_vccnz .LBB6_2
; %bb.1:
	v_cmp_neq_f64_e64 s2, s[20:21], 1.0
	v_cmp_neq_f64_e64 s3, s[22:23], 0
	s_or_b32 s2, s2, s3
.LBB6_2:
	s_delay_alu instid0(SALU_CYCLE_1)
	s_and_not1_b32 vcc_lo, exec_lo, s2
	s_cbranch_vccnz .LBB6_36
; %bb.3:
	s_load_b32 s34, s[0:1], 0x70
	s_lshr_b32 s12, ttmp7, 16
	s_wait_kmcnt 0x0
	s_cmp_ge_u32 s12, s34
	s_cbranch_scc1 .LBB6_36
; %bb.4:
	v_bfe_u32 v1, v0, 10, 10
	v_and_b32_e32 v2, 0x3ff, v0
	s_clause 0x1
	s_load_b64 s[30:31], s[0:1], 0x38
	s_load_b128 s[24:27], s[0:1], 0x28
	v_cmp_neq_f64_e64 s5, s[20:21], 0
	v_cmp_neq_f64_e64 s42, s[22:23], 0
	v_add_nc_u32_e32 v5, ttmp9, v1
	v_lshlrev_b32_e32 v6, 4, v2
	v_lshlrev_b32_e32 v9, 10, v1
	s_clause 0x1
	s_load_b64 s[38:39], s[0:1], 0x18
	s_load_b64 s[28:29], s[0:1], 0x0
	v_dual_mov_b32 v8, 0 :: v_dual_and_b32 v3, 63, v0
	v_lshl_add_u32 v7, v5, 6, v2
	v_add_nc_u32_e32 v23, v6, v9
	s_xor_b32 s35, s33, -1
	s_delay_alu instid0(VALU_DEP_3) | instskip(SKIP_2) | instid1(VALU_DEP_1)
	v_lshl_or_b32 v22, ttmp9, 6, v3
	s_mov_b32 s13, 0
	v_mad_co_u64_u32 v[9:10], null, s10, v7, 0
	v_mov_b32_e32 v11, v9
	v_lshl_add_u32 v4, v1, 6, v2
	s_wait_kmcnt 0x0
	s_bitcmp1_b32 s28, 0
	v_cmp_gt_i32_e64 s1, s29, v22
	s_delay_alu instid0(VALU_DEP_2)
	v_lshrrev_b32_e32 v21, 6, v4
	v_and_or_b32 v2, 0x1ffc0, v4, v3
	v_ashrrev_i32_e32 v3, 31, v7
	v_cmp_gt_u32_e32 vcc_lo, 64, v4
	v_mul_lo_u32 v4, s11, v7
	v_mad_co_u64_u32 v[0:1], null, s30, v21, 0
	v_lshlrev_b32_e32 v24, 4, v2
	s_mov_b32 s40, s29
	s_cselect_b32 s2, -1, 0
	s_lshl_b32 s3, s29, 1
	s_ashr_i32 s41, s29, 31
	v_cmp_gt_i32_e64 s4, s29, v7
	s_delay_alu instid0(VALU_DEP_3)
	v_mad_co_u64_u32 v[1:2], null, s31, v21, v[1:2]
	v_mul_lo_u32 v2, s10, v3
	s_or_b32 s28, s3, 1
	v_cmp_gt_i64_e64 s3, s[40:41], v[7:8]
	v_cmp_gt_i32_e64 s0, s29, v21
	s_and_b32 s36, vcc_lo, s1
	s_lshl_b64 s[10:11], s[30:31], 8
	v_lshlrev_b64_e32 v[13:14], 4, v[0:1]
	s_and_b32 s37, s36, s4
	v_add3_u32 v12, v10, v2, v4
	v_add_nc_u32_e32 v10, v10, v4
	s_lshl_b64 s[30:31], s[38:39], 4
	s_or_b32 s38, s5, s42
	v_or_b32_e32 v13, 8, v13
	v_lshlrev_b64_e32 v[15:16], 4, v[11:12]
	s_lshl_b64 s[26:27], s[26:27], 4
	s_lshl_b64 s[8:9], s[8:9], 4
	s_xor_b32 s39, s2, -1
	s_branch .LBB6_6
.LBB6_5:                                ;   in Loop: Header=BB6_6 Depth=1
	s_wait_alu 0xfffe
	s_or_b32 exec_lo, exec_lo, s4
	s_add_co_i32 s12, s12, 0x10000
	s_delay_alu instid0(SALU_CYCLE_1)
	s_cmp_lt_u32 s12, s34
	s_cbranch_scc0 .LBB6_36
.LBB6_6:                                ; =>This Loop Header: Depth=1
                                        ;     Child Loop BB6_22 Depth 2
	s_and_not1_b32 vcc_lo, exec_lo, s35
	s_mov_b32 s4, -1
	s_wait_alu 0xfffe
	s_cbranch_vccnz .LBB6_8
; %bb.7:                                ;   in Loop: Header=BB6_6 Depth=1
	s_mov_b32 s4, 0
.LBB6_8:                                ;   in Loop: Header=BB6_6 Depth=1
	v_mov_b32_e32 v6, 0
	v_dual_mov_b32 v7, 0 :: v_dual_mov_b32 v4, 0
	v_mov_b32_e32 v5, 0
	s_wait_alu 0xfffe
	s_and_not1_b32 vcc_lo, exec_lo, s4
	s_wait_alu 0xfffe
	s_cbranch_vccnz .LBB6_10
; %bb.9:                                ;   in Loop: Header=BB6_6 Depth=1
	s_lshl_b64 s[4:5], s[12:13], 3
	s_wait_alu 0xfffe
	s_add_nc_u64 s[4:5], s[14:15], s[4:5]
	global_load_b64 v[0:1], v8, s[4:5]
	s_wait_loadcnt 0x0
	v_add_co_u32 v4, vcc_lo, v0, s30
	s_wait_alu 0xfffd
	v_add_co_ci_u32_e64 v5, null, s31, v1, vcc_lo
.LBB6_10:                               ;   in Loop: Header=BB6_6 Depth=1
	s_and_not1_b32 vcc_lo, exec_lo, s33
	s_wait_alu 0xfffe
	s_cbranch_vccnz .LBB6_12
; %bb.11:                               ;   in Loop: Header=BB6_6 Depth=1
	s_lshl_b64 s[4:5], s[12:13], 3
	s_wait_alu 0xfffe
	s_add_nc_u64 s[4:5], s[24:25], s[4:5]
	global_load_b64 v[0:1], v8, s[4:5]
	s_wait_loadcnt 0x0
	v_add_co_u32 v6, vcc_lo, v0, s26
	s_wait_alu 0xfffd
	v_add_co_ci_u32_e64 v7, null, s27, v1, vcc_lo
.LBB6_12:                               ;   in Loop: Header=BB6_6 Depth=1
	s_lshl_b64 s[4:5], s[12:13], 3
	s_wait_alu 0xfffe
	s_add_nc_u64 s[4:5], s[6:7], s[4:5]
	global_load_b64 v[0:1], v8, s[4:5]
	s_wait_loadcnt 0x0
	v_add_co_u32 v25, vcc_lo, v0, s8
	s_wait_alu 0xfffd
	v_add_co_ci_u32_e64 v26, null, s9, v1, vcc_lo
	s_and_not1_b32 vcc_lo, exec_lo, s35
	s_wait_alu 0xfffe
	s_cbranch_vccnz .LBB6_17
; %bb.13:                               ;   in Loop: Header=BB6_6 Depth=1
	s_mov_b32 s4, 0
	s_mov_b32 s40, 0
                                        ; implicit-def: $vgpr2_vgpr3
	s_and_saveexec_b32 s5, s37
	s_cbranch_execz .LBB6_25
; %bb.14:                               ;   in Loop: Header=BB6_6 Depth=1
	v_mov_b32_e32 v2, 0
	v_dual_mov_b32 v3, 0 :: v_dual_mov_b32 v0, 0
	v_mov_b32_e32 v1, 0
	s_and_not1_b32 vcc_lo, exec_lo, s38
	s_wait_alu 0xfffe
	s_cbranch_vccnz .LBB6_16
; %bb.15:                               ;   in Loop: Header=BB6_6 Depth=1
	v_add_co_u32 v0, vcc_lo, v25, v15
	s_wait_alu 0xfffd
	v_add_co_ci_u32_e64 v1, null, v26, v16, vcc_lo
	flat_load_b128 v[17:20], v[0:1]
	s_wait_loadcnt_dscnt 0x0
	v_mul_f64_e32 v[0:1], s[22:23], v[19:20]
	v_mul_f64_e32 v[2:3], s[20:21], v[19:20]
	s_delay_alu instid0(VALU_DEP_2) | instskip(NEXT) | instid1(VALU_DEP_2)
	v_fma_f64 v[0:1], s[20:21], v[17:18], -v[0:1]
	v_fma_f64 v[2:3], s[22:23], v[17:18], v[2:3]
.LBB6_16:                               ;   in Loop: Header=BB6_6 Depth=1
	s_mov_b32 s40, exec_lo
	s_or_b32 exec_lo, exec_lo, s5
	s_delay_alu instid0(SALU_CYCLE_1)
	s_and_b32 vcc_lo, exec_lo, s4
	s_wait_alu 0xfffe
	s_cbranch_vccnz .LBB6_18
	s_branch .LBB6_26
.LBB6_17:                               ;   in Loop: Header=BB6_6 Depth=1
	s_mov_b32 s40, 0
                                        ; implicit-def: $vgpr2_vgpr3
	s_cbranch_execz .LBB6_26
.LBB6_18:                               ;   in Loop: Header=BB6_6 Depth=1
	v_mov_b32_e32 v2, 0
	v_dual_mov_b32 v3, 0 :: v_dual_mov_b32 v0, 0
	v_mov_b32_e32 v1, 0
	s_and_saveexec_b32 s41, s0
	s_cbranch_execz .LBB6_28
; %bb.19:                               ;   in Loop: Header=BB6_6 Depth=1
	v_dual_mov_b32 v2, 0 :: v_dual_mov_b32 v27, v21
	v_mov_b32_e32 v3, 0
	v_add_co_u32 v6, vcc_lo, v6, v13
	s_wait_alu 0xfffd
	v_add_co_ci_u32_e64 v7, null, v7, v14, vcc_lo
	s_delay_alu instid0(VALU_DEP_3)
	v_dual_mov_b32 v0, v2 :: v_dual_mov_b32 v1, v3
	s_mov_b32 s42, 0
	s_branch .LBB6_22
.LBB6_20:                               ;   in Loop: Header=BB6_22 Depth=2
	s_wait_alu 0xfffe
	s_or_b32 exec_lo, exec_lo, s5
	flat_load_b128 v[28:31], v[6:7] offset:-8
	flat_load_b64 v[19:20], v[19:20]
	s_wait_loadcnt_dscnt 0x101
	v_mul_f64_e32 v[32:33], v[17:18], v[30:31]
	s_wait_loadcnt_dscnt 0x0
	v_mul_f64_e32 v[30:31], v[19:20], v[30:31]
	s_delay_alu instid0(VALU_DEP_2) | instskip(NEXT) | instid1(VALU_DEP_2)
	v_fma_f64 v[19:20], v[19:20], v[28:29], -v[32:33]
	v_fma_f64 v[17:18], v[17:18], v[28:29], v[30:31]
	s_delay_alu instid0(VALU_DEP_2) | instskip(NEXT) | instid1(VALU_DEP_2)
	v_add_f64_e32 v[0:1], v[0:1], v[19:20]
	v_add_f64_e32 v[2:3], v[2:3], v[17:18]
.LBB6_21:                               ;   in Loop: Header=BB6_22 Depth=2
	s_or_b32 exec_lo, exec_lo, s43
	v_add_nc_u32_e32 v27, 16, v27
	v_add_co_u32 v6, s4, v6, s10
	s_wait_alu 0xf1ff
	v_add_co_ci_u32_e64 v7, null, s11, v7, s4
	s_delay_alu instid0(VALU_DEP_3) | instskip(SKIP_1) | instid1(SALU_CYCLE_1)
	v_cmp_le_i32_e32 vcc_lo, s29, v27
	s_or_b32 s42, vcc_lo, s42
	s_and_not1_b32 exec_lo, exec_lo, s42
	s_cbranch_execz .LBB6_27
.LBB6_22:                               ;   Parent Loop BB6_6 Depth=1
                                        ; =>  This Inner Loop Header: Depth=2
	s_and_saveexec_b32 s43, s1
	s_cbranch_execz .LBB6_21
; %bb.23:                               ;   in Loop: Header=BB6_22 Depth=2
	v_cmp_le_i32_e32 vcc_lo, v22, v27
	v_cmp_ge_i32_e64 s4, v22, v27
	s_or_b32 s5, s39, vcc_lo
	s_or_b32 s4, s2, s4
	s_wait_alu 0xfffe
	s_and_b32 vcc_lo, s5, s4
	s_wait_alu 0xfffe
	v_dual_cndmask_b32 v19, v27, v22 :: v_dual_cndmask_b32 v20, v22, v27
	s_delay_alu instid0(VALU_DEP_1) | instskip(SKIP_1) | instid1(VALU_DEP_1)
	v_sub_nc_u32_e32 v17, s28, v20
	v_add_nc_u32_e32 v18, 1, v20
	v_cndmask_b32_e64 v17, v17, v18, s2
	s_delay_alu instid0(VALU_DEP_1) | instskip(SKIP_1) | instid1(VALU_DEP_1)
	v_mad_co_i64_i32 v[17:18], null, v17, v20, 0
	v_cndmask_b32_e64 v20, v20, 0, s2
	v_sub_nc_u32_e32 v19, v19, v20
	s_delay_alu instid0(VALU_DEP_3) | instskip(NEXT) | instid1(VALU_DEP_2)
	v_lshrrev_b32_e32 v28, 31, v18
	v_ashrrev_i32_e32 v20, 31, v19
	s_delay_alu instid0(VALU_DEP_2) | instskip(SKIP_2) | instid1(VALU_DEP_3)
	v_add_co_u32 v17, s4, v17, v28
	s_wait_alu 0xf1ff
	v_add_co_ci_u32_e64 v18, null, 0, v18, s4
	v_lshlrev_b64_e32 v[19:20], 4, v[19:20]
	s_delay_alu instid0(VALU_DEP_2) | instskip(NEXT) | instid1(VALU_DEP_1)
	v_lshlrev_b64_e32 v[17:18], 3, v[17:18]
	v_and_b32_e32 v17, -16, v17
	s_delay_alu instid0(VALU_DEP_1) | instskip(SKIP_1) | instid1(VALU_DEP_3)
	v_add_co_u32 v28, s5, v4, v17
	s_wait_alu 0xf1ff
	v_add_co_ci_u32_e64 v29, null, v5, v18, s5
	v_mov_b32_e32 v17, 0
	s_delay_alu instid0(VALU_DEP_3)
	v_add_co_u32 v19, s5, v28, v19
	v_mov_b32_e32 v18, 0
	s_wait_alu 0xf1ff
	v_add_co_ci_u32_e64 v20, null, v29, v20, s5
	s_mov_b32 s5, exec_lo
	v_cmpx_ne_u32_e64 v22, v27
	s_cbranch_execz .LBB6_20
; %bb.24:                               ;   in Loop: Header=BB6_22 Depth=2
	flat_load_b64 v[17:18], v[19:20] offset:8
	s_wait_loadcnt_dscnt 0x0
	v_xor_b32_e32 v28, 0x80000000, v18
	s_delay_alu instid0(VALU_DEP_1)
	v_cndmask_b32_e32 v18, v28, v18, vcc_lo
	s_branch .LBB6_20
.LBB6_25:                               ;   in Loop: Header=BB6_6 Depth=1
	s_wait_alu 0xfffe
	s_or_b32 exec_lo, exec_lo, s5
	s_delay_alu instid0(SALU_CYCLE_1)
	s_and_b32 vcc_lo, exec_lo, s4
	s_wait_alu 0xfffe
	s_cbranch_vccnz .LBB6_18
.LBB6_26:                               ;   in Loop: Header=BB6_6 Depth=1
	v_dual_mov_b32 v4, v11 :: v_dual_mov_b32 v5, v12
	s_wait_alu 0xfffe
	s_and_saveexec_b32 s4, s40
	s_cbranch_execz .LBB6_5
	s_branch .LBB6_35
.LBB6_27:                               ;   in Loop: Header=BB6_6 Depth=1
	s_or_b32 exec_lo, exec_lo, s42
.LBB6_28:                               ;   in Loop: Header=BB6_6 Depth=1
	s_wait_alu 0xfffe
	s_or_b32 exec_lo, exec_lo, s41
	ds_store_b128 v24, v[0:3]
	s_wait_dscnt 0x0
	s_barrier_signal -1
	s_barrier_wait -1
	global_inv scope:SCOPE_SE
                                        ; implicit-def: $vgpr2_vgpr3
	s_and_saveexec_b32 s4, s36
	s_cbranch_execz .LBB6_34
; %bb.29:                               ;   in Loop: Header=BB6_6 Depth=1
	ds_load_b128 v[0:3], v23
	ds_load_b128 v[4:7], v23 offset:1024
	s_mov_b32 s41, s40
	s_wait_dscnt 0x0
	v_add_f64_e32 v[17:18], v[0:1], v[4:5]
	v_add_f64_e32 v[19:20], v[2:3], v[6:7]
	ds_load_b128 v[0:3], v23 offset:2048
	ds_load_b128 v[4:7], v23 offset:3072
	s_wait_dscnt 0x1
	v_add_f64_e32 v[0:1], v[17:18], v[0:1]
	v_add_f64_e32 v[2:3], v[19:20], v[2:3]
	s_wait_dscnt 0x0
	s_delay_alu instid0(VALU_DEP_2) | instskip(NEXT) | instid1(VALU_DEP_2)
	v_add_f64_e32 v[17:18], v[0:1], v[4:5]
	v_add_f64_e32 v[19:20], v[2:3], v[6:7]
	ds_load_b128 v[0:3], v23 offset:4096
	ds_load_b128 v[4:7], v23 offset:5120
	s_wait_dscnt 0x1
	v_add_f64_e32 v[0:1], v[17:18], v[0:1]
	v_add_f64_e32 v[2:3], v[19:20], v[2:3]
	s_wait_dscnt 0x0
	s_delay_alu instid0(VALU_DEP_2) | instskip(NEXT) | instid1(VALU_DEP_2)
	;; [unrolled: 9-line block ×4, first 2 shown]
	v_add_f64_e32 v[0:1], v[0:1], v[4:5]
	v_add_f64_e32 v[2:3], v[2:3], v[6:7]
	ds_load_b128 v[4:7], v23 offset:10240
	ds_load_b128 v[17:20], v23 offset:11264
	s_wait_dscnt 0x1
	v_add_f64_e32 v[27:28], v[0:1], v[4:5]
	v_add_f64_e32 v[29:30], v[2:3], v[6:7]
	ds_load_b128 v[4:7], v23 offset:12288
	ds_load_b128 v[31:34], v23 offset:13312
	s_wait_dscnt 0x2
	v_add_f64_e32 v[17:18], v[27:28], v[17:18]
	v_add_f64_e32 v[19:20], v[29:30], v[19:20]
	s_wait_dscnt 0x1
	s_delay_alu instid0(VALU_DEP_2) | instskip(NEXT) | instid1(VALU_DEP_2)
	v_add_f64_e32 v[35:36], v[17:18], v[4:5]
	v_add_f64_e32 v[37:38], v[19:20], v[6:7]
	ds_load_b128 v[4:7], v23 offset:14336
	ds_load_b128 v[39:42], v23 offset:15360
	s_wait_dscnt 0x2
	v_add_f64_e32 v[31:32], v[35:36], v[31:32]
	v_add_f64_e32 v[33:34], v[37:38], v[33:34]
	s_wait_dscnt 0x1
	s_delay_alu instid0(VALU_DEP_2) | instskip(NEXT) | instid1(VALU_DEP_2)
	v_add_f64_e32 v[43:44], v[31:32], v[4:5]
	v_add_f64_e32 v[45:46], v[33:34], v[6:7]
	ds_store_b128 v23, v[0:3]
	ds_store_b128 v23, v[27:30]
	;; [unrolled: 1-line block ×6, first 2 shown]
                                        ; implicit-def: $vgpr2_vgpr3
	s_wait_dscnt 0x6
	v_add_f64_e32 v[4:5], v[43:44], v[39:40]
	v_add_f64_e32 v[6:7], v[45:46], v[41:42]
	ds_store_b128 v23, v[4:7]
	s_and_saveexec_b32 s5, s3
	s_cbranch_execz .LBB6_33
; %bb.30:                               ;   in Loop: Header=BB6_6 Depth=1
	v_mul_f64_e32 v[0:1], s[18:19], v[6:7]
	v_mul_f64_e32 v[2:3], s[16:17], v[6:7]
	s_and_not1_b32 vcc_lo, exec_lo, s38
	s_delay_alu instid0(VALU_DEP_2) | instskip(NEXT) | instid1(VALU_DEP_2)
	v_fma_f64 v[0:1], s[16:17], v[4:5], -v[0:1]
	v_fma_f64 v[2:3], s[18:19], v[4:5], v[2:3]
	s_wait_alu 0xfffe
	s_cbranch_vccnz .LBB6_32
; %bb.31:                               ;   in Loop: Header=BB6_6 Depth=1
	v_lshlrev_b64_e32 v[4:5], 4, v[9:10]
	s_delay_alu instid0(VALU_DEP_1) | instskip(SKIP_1) | instid1(VALU_DEP_2)
	v_add_co_u32 v4, vcc_lo, v25, v4
	s_wait_alu 0xfffd
	v_add_co_ci_u32_e64 v5, null, v26, v5, vcc_lo
	flat_load_b128 v[4:7], v[4:5]
	s_wait_loadcnt_dscnt 0x0
	v_mul_f64_e32 v[17:18], s[22:23], v[6:7]
	v_mul_f64_e32 v[6:7], s[20:21], v[6:7]
	s_delay_alu instid0(VALU_DEP_2) | instskip(NEXT) | instid1(VALU_DEP_2)
	v_fma_f64 v[17:18], s[20:21], v[4:5], -v[17:18]
	v_fma_f64 v[4:5], s[22:23], v[4:5], v[6:7]
	s_delay_alu instid0(VALU_DEP_2) | instskip(NEXT) | instid1(VALU_DEP_2)
	v_add_f64_e32 v[0:1], v[0:1], v[17:18]
	v_add_f64_e32 v[2:3], v[2:3], v[4:5]
.LBB6_32:                               ;   in Loop: Header=BB6_6 Depth=1
	s_or_b32 s41, s40, exec_lo
.LBB6_33:                               ;   in Loop: Header=BB6_6 Depth=1
	s_wait_alu 0xfffe
	s_or_b32 exec_lo, exec_lo, s5
	s_delay_alu instid0(SALU_CYCLE_1)
	s_and_not1_b32 s5, s40, exec_lo
	s_and_b32 s40, s41, exec_lo
	s_wait_alu 0xfffe
	s_or_b32 s40, s5, s40
.LBB6_34:                               ;   in Loop: Header=BB6_6 Depth=1
	s_wait_alu 0xfffe
	s_or_b32 exec_lo, exec_lo, s4
	v_dual_mov_b32 v4, v9 :: v_dual_mov_b32 v5, v10
	s_and_saveexec_b32 s4, s40
	s_cbranch_execz .LBB6_5
.LBB6_35:                               ;   in Loop: Header=BB6_6 Depth=1
	s_delay_alu instid0(VALU_DEP_1) | instskip(NEXT) | instid1(VALU_DEP_1)
	v_lshlrev_b64_e32 v[4:5], 4, v[4:5]
	v_add_co_u32 v4, vcc_lo, v25, v4
	s_wait_alu 0xfffd
	s_delay_alu instid0(VALU_DEP_2)
	v_add_co_ci_u32_e64 v5, null, v26, v5, vcc_lo
	flat_store_b128 v[4:5], v[0:3]
	s_branch .LBB6_5
.LBB6_36:
	s_endpgm
	.section	.rodata,"a",@progbits
	.p2align	6, 0x0
	.amdhsa_kernel _ZL19rocblas_hpmv_kernelILi64ELi16EPK19rocblas_complex_numIdEPKS3_PKPS1_EvbiT1_T2_llSA_lllS9_T3_llli
		.amdhsa_group_segment_fixed_size 16384
		.amdhsa_private_segment_fixed_size 0
		.amdhsa_kernarg_size 116
		.amdhsa_user_sgpr_count 2
		.amdhsa_user_sgpr_dispatch_ptr 0
		.amdhsa_user_sgpr_queue_ptr 0
		.amdhsa_user_sgpr_kernarg_segment_ptr 1
		.amdhsa_user_sgpr_dispatch_id 0
		.amdhsa_user_sgpr_private_segment_size 0
		.amdhsa_wavefront_size32 1
		.amdhsa_uses_dynamic_stack 0
		.amdhsa_enable_private_segment 0
		.amdhsa_system_sgpr_workgroup_id_x 1
		.amdhsa_system_sgpr_workgroup_id_y 0
		.amdhsa_system_sgpr_workgroup_id_z 1
		.amdhsa_system_sgpr_workgroup_info 0
		.amdhsa_system_vgpr_workitem_id 1
		.amdhsa_next_free_vgpr 47
		.amdhsa_next_free_sgpr 44
		.amdhsa_reserve_vcc 1
		.amdhsa_float_round_mode_32 0
		.amdhsa_float_round_mode_16_64 0
		.amdhsa_float_denorm_mode_32 3
		.amdhsa_float_denorm_mode_16_64 3
		.amdhsa_fp16_overflow 0
		.amdhsa_workgroup_processor_mode 1
		.amdhsa_memory_ordered 1
		.amdhsa_forward_progress 1
		.amdhsa_inst_pref_size 16
		.amdhsa_round_robin_scheduling 0
		.amdhsa_exception_fp_ieee_invalid_op 0
		.amdhsa_exception_fp_denorm_src 0
		.amdhsa_exception_fp_ieee_div_zero 0
		.amdhsa_exception_fp_ieee_overflow 0
		.amdhsa_exception_fp_ieee_underflow 0
		.amdhsa_exception_fp_ieee_inexact 0
		.amdhsa_exception_int_div_zero 0
	.end_amdhsa_kernel
	.section	.text._ZL19rocblas_hpmv_kernelILi64ELi16EPK19rocblas_complex_numIdEPKS3_PKPS1_EvbiT1_T2_llSA_lllS9_T3_llli,"axG",@progbits,_ZL19rocblas_hpmv_kernelILi64ELi16EPK19rocblas_complex_numIdEPKS3_PKPS1_EvbiT1_T2_llSA_lllS9_T3_llli,comdat
.Lfunc_end6:
	.size	_ZL19rocblas_hpmv_kernelILi64ELi16EPK19rocblas_complex_numIdEPKS3_PKPS1_EvbiT1_T2_llSA_lllS9_T3_llli, .Lfunc_end6-_ZL19rocblas_hpmv_kernelILi64ELi16EPK19rocblas_complex_numIdEPKS3_PKPS1_EvbiT1_T2_llSA_lllS9_T3_llli
                                        ; -- End function
	.set _ZL19rocblas_hpmv_kernelILi64ELi16EPK19rocblas_complex_numIdEPKS3_PKPS1_EvbiT1_T2_llSA_lllS9_T3_llli.num_vgpr, 47
	.set _ZL19rocblas_hpmv_kernelILi64ELi16EPK19rocblas_complex_numIdEPKS3_PKPS1_EvbiT1_T2_llSA_lllS9_T3_llli.num_agpr, 0
	.set _ZL19rocblas_hpmv_kernelILi64ELi16EPK19rocblas_complex_numIdEPKS3_PKPS1_EvbiT1_T2_llSA_lllS9_T3_llli.numbered_sgpr, 44
	.set _ZL19rocblas_hpmv_kernelILi64ELi16EPK19rocblas_complex_numIdEPKS3_PKPS1_EvbiT1_T2_llSA_lllS9_T3_llli.num_named_barrier, 0
	.set _ZL19rocblas_hpmv_kernelILi64ELi16EPK19rocblas_complex_numIdEPKS3_PKPS1_EvbiT1_T2_llSA_lllS9_T3_llli.private_seg_size, 0
	.set _ZL19rocblas_hpmv_kernelILi64ELi16EPK19rocblas_complex_numIdEPKS3_PKPS1_EvbiT1_T2_llSA_lllS9_T3_llli.uses_vcc, 1
	.set _ZL19rocblas_hpmv_kernelILi64ELi16EPK19rocblas_complex_numIdEPKS3_PKPS1_EvbiT1_T2_llSA_lllS9_T3_llli.uses_flat_scratch, 0
	.set _ZL19rocblas_hpmv_kernelILi64ELi16EPK19rocblas_complex_numIdEPKS3_PKPS1_EvbiT1_T2_llSA_lllS9_T3_llli.has_dyn_sized_stack, 0
	.set _ZL19rocblas_hpmv_kernelILi64ELi16EPK19rocblas_complex_numIdEPKS3_PKPS1_EvbiT1_T2_llSA_lllS9_T3_llli.has_recursion, 0
	.set _ZL19rocblas_hpmv_kernelILi64ELi16EPK19rocblas_complex_numIdEPKS3_PKPS1_EvbiT1_T2_llSA_lllS9_T3_llli.has_indirect_call, 0
	.section	.AMDGPU.csdata,"",@progbits
; Kernel info:
; codeLenInByte = 2044
; TotalNumSgprs: 46
; NumVgprs: 47
; ScratchSize: 0
; MemoryBound: 0
; FloatMode: 240
; IeeeMode: 1
; LDSByteSize: 16384 bytes/workgroup (compile time only)
; SGPRBlocks: 0
; VGPRBlocks: 5
; NumSGPRsForWavesPerEU: 46
; NumVGPRsForWavesPerEU: 47
; Occupancy: 16
; WaveLimiterHint : 1
; COMPUTE_PGM_RSRC2:SCRATCH_EN: 0
; COMPUTE_PGM_RSRC2:USER_SGPR: 2
; COMPUTE_PGM_RSRC2:TRAP_HANDLER: 0
; COMPUTE_PGM_RSRC2:TGID_X_EN: 1
; COMPUTE_PGM_RSRC2:TGID_Y_EN: 0
; COMPUTE_PGM_RSRC2:TGID_Z_EN: 1
; COMPUTE_PGM_RSRC2:TIDIG_COMP_CNT: 1
	.section	.text._ZL19rocblas_hpmv_kernelILi64ELi16E19rocblas_complex_numIdEPKPKS1_PKPS1_EvbiT1_T2_llSA_lllS9_T3_llli,"axG",@progbits,_ZL19rocblas_hpmv_kernelILi64ELi16E19rocblas_complex_numIdEPKPKS1_PKPS1_EvbiT1_T2_llSA_lllS9_T3_llli,comdat
	.globl	_ZL19rocblas_hpmv_kernelILi64ELi16E19rocblas_complex_numIdEPKPKS1_PKPS1_EvbiT1_T2_llSA_lllS9_T3_llli ; -- Begin function _ZL19rocblas_hpmv_kernelILi64ELi16E19rocblas_complex_numIdEPKPKS1_PKPS1_EvbiT1_T2_llSA_lllS9_T3_llli
	.p2align	8
	.type	_ZL19rocblas_hpmv_kernelILi64ELi16E19rocblas_complex_numIdEPKPKS1_PKPS1_EvbiT1_T2_llSA_lllS9_T3_llli,@function
_ZL19rocblas_hpmv_kernelILi64ELi16E19rocblas_complex_numIdEPKPKS1_PKPS1_EvbiT1_T2_llSA_lllS9_T3_llli: ; @_ZL19rocblas_hpmv_kernelILi64ELi16E19rocblas_complex_numIdEPKPKS1_PKPS1_EvbiT1_T2_llSA_lllS9_T3_llli
; %bb.0:
	s_clause 0x1
	s_load_b256 s[8:15], s[0:1], 0x8
	s_load_b256 s[16:23], s[0:1], 0x50
	s_wait_kmcnt 0x0
	v_cmp_neq_f64_e64 s2, s[8:9], 0
	v_cmp_neq_f64_e64 s3, s[10:11], 0
	s_or_b32 s33, s2, s3
	s_mov_b32 s2, -1
	s_and_b32 vcc_lo, exec_lo, s33
	s_cbranch_vccnz .LBB7_2
; %bb.1:
	v_cmp_neq_f64_e64 s2, s[16:17], 1.0
	v_cmp_neq_f64_e64 s3, s[18:19], 0
	s_or_b32 s2, s2, s3
.LBB7_2:
	s_delay_alu instid0(SALU_CYCLE_1)
	s_and_not1_b32 vcc_lo, exec_lo, s2
	s_cbranch_vccnz .LBB7_36
; %bb.3:
	s_load_b32 s34, s[0:1], 0x80
	s_lshr_b32 s6, ttmp7, 16
	s_wait_kmcnt 0x0
	s_cmp_ge_u32 s6, s34
	s_cbranch_scc1 .LBB7_36
; %bb.4:
	s_clause 0x3
	s_load_b64 s[30:31], s[0:1], 0x40
	s_load_b64 s[2:3], s[0:1], 0x70
	;; [unrolled: 1-line block ×3, first 2 shown]
	s_load_b128 s[24:27], s[0:1], 0x30
	v_dual_mov_b32 v8, 0 :: v_dual_and_b32 v1, 0x3ff, v0
	v_bfe_u32 v2, v0, 10, 10
	v_cmp_neq_f64_e64 s5, s[16:17], 0
	v_cmp_neq_f64_e64 s40, s[18:19], 0
	v_and_b32_e32 v3, 63, v0
	v_lshlrev_b32_e32 v5, 4, v1
	v_lshl_add_u32 v4, v2, 6, v1
	v_add_nc_u32_e32 v0, ttmp9, v2
	v_lshlrev_b32_e32 v2, 10, v2
	v_lshl_or_b32 v22, ttmp9, 6, v3
	s_xor_b32 s35, s33, -1
	v_lshrrev_b32_e32 v21, 6, v4
	v_lshl_add_u32 v7, v0, 6, v1
	v_add_nc_u32_e32 v23, v5, v2
	v_and_or_b32 v6, 0x1ffc0, v4, v3
	v_cmp_gt_u32_e32 vcc_lo, 64, v4
	s_wait_kmcnt 0x0
	v_mad_co_u64_u32 v[0:1], null, s30, v21, 0
	v_ashrrev_i32_e32 v2, 31, v7
	v_mul_lo_u32 v4, s3, v7
	v_mad_co_u64_u32 v[9:10], null, s2, v7, 0
	s_bitcmp1_b32 s28, 0
	v_mul_lo_u32 v3, s2, v2
	v_mad_co_u64_u32 v[1:2], null, s31, v21, v[1:2]
	v_cmp_gt_i32_e64 s1, s29, v22
	s_mov_b32 s38, s29
	v_mov_b32_e32 v13, v9
	s_cselect_b32 s2, -1, 0
	s_lshl_b32 s3, s29, 1
	v_add3_u32 v14, v10, v3, v4
	v_lshlrev_b64_e32 v[11:12], 4, v[0:1]
	s_ashr_i32 s39, s29, 31
	v_cmp_gt_i32_e64 s4, s29, v7
	s_wait_alu 0xfffe
	s_or_b32 s28, s3, 1
	v_cmp_gt_i64_e64 s3, s[38:39], v[7:8]
	v_lshlrev_b64_e32 v[15:16], 4, v[13:14]
	v_lshlrev_b32_e32 v24, 4, v6
	v_cmp_gt_i32_e64 s0, s29, v21
	v_add_nc_u32_e32 v10, v10, v4
	v_or_b32_e32 v11, 8, v11
	s_and_b32 s36, vcc_lo, s1
	s_mov_b32 s7, 0
	s_lshl_b64 s[30:31], s[30:31], 8
	s_and_b32 s37, s36, s4
	s_lshl_b64 s[14:15], s[14:15], 4
	s_or_b32 s38, s5, s40
	s_lshl_b64 s[26:27], s[26:27], 4
	s_lshl_b64 s[22:23], s[22:23], 4
	s_xor_b32 s39, s2, -1
	s_branch .LBB7_6
.LBB7_5:                                ;   in Loop: Header=BB7_6 Depth=1
	s_wait_alu 0xfffe
	s_or_b32 exec_lo, exec_lo, s4
	s_add_co_i32 s6, s6, 0x10000
	s_delay_alu instid0(SALU_CYCLE_1)
	s_cmp_lt_u32 s6, s34
	s_cbranch_scc0 .LBB7_36
.LBB7_6:                                ; =>This Loop Header: Depth=1
                                        ;     Child Loop BB7_22 Depth 2
	s_and_not1_b32 vcc_lo, exec_lo, s35
	s_mov_b32 s4, -1
	s_wait_alu 0xfffe
	s_cbranch_vccnz .LBB7_8
; %bb.7:                                ;   in Loop: Header=BB7_6 Depth=1
	s_mov_b32 s4, 0
.LBB7_8:                                ;   in Loop: Header=BB7_6 Depth=1
	v_mov_b32_e32 v6, 0
	v_dual_mov_b32 v7, 0 :: v_dual_mov_b32 v4, 0
	v_mov_b32_e32 v5, 0
	s_wait_alu 0xfffe
	s_and_not1_b32 vcc_lo, exec_lo, s4
	s_wait_alu 0xfffe
	s_cbranch_vccnz .LBB7_10
; %bb.9:                                ;   in Loop: Header=BB7_6 Depth=1
	s_lshl_b64 s[4:5], s[6:7], 3
	s_wait_alu 0xfffe
	s_add_nc_u64 s[4:5], s[12:13], s[4:5]
	global_load_b64 v[0:1], v8, s[4:5]
	s_wait_loadcnt 0x0
	v_add_co_u32 v4, vcc_lo, v0, s14
	s_wait_alu 0xfffd
	v_add_co_ci_u32_e64 v5, null, s15, v1, vcc_lo
.LBB7_10:                               ;   in Loop: Header=BB7_6 Depth=1
	s_and_not1_b32 vcc_lo, exec_lo, s33
	s_wait_alu 0xfffe
	s_cbranch_vccnz .LBB7_12
; %bb.11:                               ;   in Loop: Header=BB7_6 Depth=1
	s_lshl_b64 s[4:5], s[6:7], 3
	s_wait_alu 0xfffe
	s_add_nc_u64 s[4:5], s[24:25], s[4:5]
	global_load_b64 v[0:1], v8, s[4:5]
	s_wait_loadcnt 0x0
	v_add_co_u32 v6, vcc_lo, v0, s26
	s_wait_alu 0xfffd
	v_add_co_ci_u32_e64 v7, null, s27, v1, vcc_lo
.LBB7_12:                               ;   in Loop: Header=BB7_6 Depth=1
	s_lshl_b64 s[4:5], s[6:7], 3
	s_wait_alu 0xfffe
	s_add_nc_u64 s[4:5], s[20:21], s[4:5]
	global_load_b64 v[0:1], v8, s[4:5]
	s_wait_loadcnt 0x0
	v_add_co_u32 v25, vcc_lo, v0, s22
	s_wait_alu 0xfffd
	v_add_co_ci_u32_e64 v26, null, s23, v1, vcc_lo
	s_and_not1_b32 vcc_lo, exec_lo, s35
	s_wait_alu 0xfffe
	s_cbranch_vccnz .LBB7_17
; %bb.13:                               ;   in Loop: Header=BB7_6 Depth=1
	s_mov_b32 s4, 0
	s_mov_b32 s40, 0
                                        ; implicit-def: $vgpr2_vgpr3
	s_and_saveexec_b32 s5, s37
	s_cbranch_execz .LBB7_25
; %bb.14:                               ;   in Loop: Header=BB7_6 Depth=1
	v_mov_b32_e32 v2, 0
	v_dual_mov_b32 v3, 0 :: v_dual_mov_b32 v0, 0
	v_mov_b32_e32 v1, 0
	s_and_not1_b32 vcc_lo, exec_lo, s38
	s_wait_alu 0xfffe
	s_cbranch_vccnz .LBB7_16
; %bb.15:                               ;   in Loop: Header=BB7_6 Depth=1
	v_add_co_u32 v0, vcc_lo, v25, v15
	s_wait_alu 0xfffd
	v_add_co_ci_u32_e64 v1, null, v26, v16, vcc_lo
	flat_load_b128 v[17:20], v[0:1]
	s_wait_loadcnt_dscnt 0x0
	v_mul_f64_e32 v[0:1], s[18:19], v[19:20]
	v_mul_f64_e32 v[2:3], s[16:17], v[19:20]
	s_delay_alu instid0(VALU_DEP_2) | instskip(NEXT) | instid1(VALU_DEP_2)
	v_fma_f64 v[0:1], s[16:17], v[17:18], -v[0:1]
	v_fma_f64 v[2:3], s[18:19], v[17:18], v[2:3]
.LBB7_16:                               ;   in Loop: Header=BB7_6 Depth=1
	s_mov_b32 s40, exec_lo
	s_or_b32 exec_lo, exec_lo, s5
	s_delay_alu instid0(SALU_CYCLE_1)
	s_and_b32 vcc_lo, exec_lo, s4
	s_wait_alu 0xfffe
	s_cbranch_vccnz .LBB7_18
	s_branch .LBB7_26
.LBB7_17:                               ;   in Loop: Header=BB7_6 Depth=1
	s_mov_b32 s40, 0
                                        ; implicit-def: $vgpr2_vgpr3
	s_cbranch_execz .LBB7_26
.LBB7_18:                               ;   in Loop: Header=BB7_6 Depth=1
	v_mov_b32_e32 v2, 0
	v_dual_mov_b32 v3, 0 :: v_dual_mov_b32 v0, 0
	v_mov_b32_e32 v1, 0
	s_and_saveexec_b32 s41, s0
	s_cbranch_execz .LBB7_28
; %bb.19:                               ;   in Loop: Header=BB7_6 Depth=1
	v_dual_mov_b32 v2, 0 :: v_dual_mov_b32 v27, v21
	v_mov_b32_e32 v3, 0
	v_add_co_u32 v6, vcc_lo, v6, v11
	s_wait_alu 0xfffd
	v_add_co_ci_u32_e64 v7, null, v7, v12, vcc_lo
	s_delay_alu instid0(VALU_DEP_3)
	v_dual_mov_b32 v0, v2 :: v_dual_mov_b32 v1, v3
	s_mov_b32 s42, 0
	s_branch .LBB7_22
.LBB7_20:                               ;   in Loop: Header=BB7_22 Depth=2
	s_wait_alu 0xfffe
	s_or_b32 exec_lo, exec_lo, s5
	flat_load_b128 v[28:31], v[6:7] offset:-8
	flat_load_b64 v[19:20], v[19:20]
	s_wait_loadcnt_dscnt 0x101
	v_mul_f64_e32 v[32:33], v[17:18], v[30:31]
	s_wait_loadcnt_dscnt 0x0
	v_mul_f64_e32 v[30:31], v[19:20], v[30:31]
	s_delay_alu instid0(VALU_DEP_2) | instskip(NEXT) | instid1(VALU_DEP_2)
	v_fma_f64 v[19:20], v[19:20], v[28:29], -v[32:33]
	v_fma_f64 v[17:18], v[17:18], v[28:29], v[30:31]
	s_delay_alu instid0(VALU_DEP_2) | instskip(NEXT) | instid1(VALU_DEP_2)
	v_add_f64_e32 v[0:1], v[0:1], v[19:20]
	v_add_f64_e32 v[2:3], v[2:3], v[17:18]
.LBB7_21:                               ;   in Loop: Header=BB7_22 Depth=2
	s_or_b32 exec_lo, exec_lo, s43
	v_add_nc_u32_e32 v27, 16, v27
	v_add_co_u32 v6, s4, v6, s30
	s_wait_alu 0xf1ff
	v_add_co_ci_u32_e64 v7, null, s31, v7, s4
	s_delay_alu instid0(VALU_DEP_3) | instskip(SKIP_1) | instid1(SALU_CYCLE_1)
	v_cmp_le_i32_e32 vcc_lo, s29, v27
	s_or_b32 s42, vcc_lo, s42
	s_and_not1_b32 exec_lo, exec_lo, s42
	s_cbranch_execz .LBB7_27
.LBB7_22:                               ;   Parent Loop BB7_6 Depth=1
                                        ; =>  This Inner Loop Header: Depth=2
	s_and_saveexec_b32 s43, s1
	s_cbranch_execz .LBB7_21
; %bb.23:                               ;   in Loop: Header=BB7_22 Depth=2
	v_cmp_le_i32_e32 vcc_lo, v22, v27
	v_cmp_ge_i32_e64 s4, v22, v27
	s_or_b32 s5, s39, vcc_lo
	s_or_b32 s4, s2, s4
	s_wait_alu 0xfffe
	s_and_b32 vcc_lo, s5, s4
	s_wait_alu 0xfffe
	v_dual_cndmask_b32 v19, v27, v22 :: v_dual_cndmask_b32 v20, v22, v27
	s_delay_alu instid0(VALU_DEP_1) | instskip(SKIP_1) | instid1(VALU_DEP_1)
	v_sub_nc_u32_e32 v17, s28, v20
	v_add_nc_u32_e32 v18, 1, v20
	v_cndmask_b32_e64 v17, v17, v18, s2
	s_delay_alu instid0(VALU_DEP_1) | instskip(SKIP_1) | instid1(VALU_DEP_1)
	v_mad_co_i64_i32 v[17:18], null, v17, v20, 0
	v_cndmask_b32_e64 v20, v20, 0, s2
	v_sub_nc_u32_e32 v19, v19, v20
	s_delay_alu instid0(VALU_DEP_3) | instskip(NEXT) | instid1(VALU_DEP_2)
	v_lshrrev_b32_e32 v28, 31, v18
	v_ashrrev_i32_e32 v20, 31, v19
	s_delay_alu instid0(VALU_DEP_2) | instskip(SKIP_2) | instid1(VALU_DEP_3)
	v_add_co_u32 v17, s4, v17, v28
	s_wait_alu 0xf1ff
	v_add_co_ci_u32_e64 v18, null, 0, v18, s4
	v_lshlrev_b64_e32 v[19:20], 4, v[19:20]
	s_delay_alu instid0(VALU_DEP_2) | instskip(NEXT) | instid1(VALU_DEP_1)
	v_lshlrev_b64_e32 v[17:18], 3, v[17:18]
	v_and_b32_e32 v17, -16, v17
	s_delay_alu instid0(VALU_DEP_1) | instskip(SKIP_1) | instid1(VALU_DEP_3)
	v_add_co_u32 v28, s5, v4, v17
	s_wait_alu 0xf1ff
	v_add_co_ci_u32_e64 v29, null, v5, v18, s5
	v_mov_b32_e32 v17, 0
	s_delay_alu instid0(VALU_DEP_3)
	v_add_co_u32 v19, s5, v28, v19
	v_mov_b32_e32 v18, 0
	s_wait_alu 0xf1ff
	v_add_co_ci_u32_e64 v20, null, v29, v20, s5
	s_mov_b32 s5, exec_lo
	v_cmpx_ne_u32_e64 v22, v27
	s_cbranch_execz .LBB7_20
; %bb.24:                               ;   in Loop: Header=BB7_22 Depth=2
	flat_load_b64 v[17:18], v[19:20] offset:8
	s_wait_loadcnt_dscnt 0x0
	v_xor_b32_e32 v28, 0x80000000, v18
	s_delay_alu instid0(VALU_DEP_1)
	v_cndmask_b32_e32 v18, v28, v18, vcc_lo
	s_branch .LBB7_20
.LBB7_25:                               ;   in Loop: Header=BB7_6 Depth=1
	s_wait_alu 0xfffe
	s_or_b32 exec_lo, exec_lo, s5
	s_delay_alu instid0(SALU_CYCLE_1)
	s_and_b32 vcc_lo, exec_lo, s4
	s_wait_alu 0xfffe
	s_cbranch_vccnz .LBB7_18
.LBB7_26:                               ;   in Loop: Header=BB7_6 Depth=1
	v_dual_mov_b32 v4, v13 :: v_dual_mov_b32 v5, v14
	s_and_saveexec_b32 s4, s40
	s_cbranch_execz .LBB7_5
	s_branch .LBB7_35
.LBB7_27:                               ;   in Loop: Header=BB7_6 Depth=1
	s_or_b32 exec_lo, exec_lo, s42
.LBB7_28:                               ;   in Loop: Header=BB7_6 Depth=1
	s_delay_alu instid0(SALU_CYCLE_1)
	s_or_b32 exec_lo, exec_lo, s41
	ds_store_b128 v24, v[0:3]
	s_wait_dscnt 0x0
	s_barrier_signal -1
	s_barrier_wait -1
	global_inv scope:SCOPE_SE
                                        ; implicit-def: $vgpr2_vgpr3
	s_and_saveexec_b32 s4, s36
	s_cbranch_execz .LBB7_34
; %bb.29:                               ;   in Loop: Header=BB7_6 Depth=1
	ds_load_b128 v[0:3], v23
	ds_load_b128 v[4:7], v23 offset:1024
	s_mov_b32 s41, s40
	s_wait_dscnt 0x0
	v_add_f64_e32 v[17:18], v[0:1], v[4:5]
	v_add_f64_e32 v[19:20], v[2:3], v[6:7]
	ds_load_b128 v[0:3], v23 offset:2048
	ds_load_b128 v[4:7], v23 offset:3072
	s_wait_dscnt 0x1
	v_add_f64_e32 v[0:1], v[17:18], v[0:1]
	v_add_f64_e32 v[2:3], v[19:20], v[2:3]
	s_wait_dscnt 0x0
	s_delay_alu instid0(VALU_DEP_2) | instskip(NEXT) | instid1(VALU_DEP_2)
	v_add_f64_e32 v[17:18], v[0:1], v[4:5]
	v_add_f64_e32 v[19:20], v[2:3], v[6:7]
	ds_load_b128 v[0:3], v23 offset:4096
	ds_load_b128 v[4:7], v23 offset:5120
	s_wait_dscnt 0x1
	v_add_f64_e32 v[0:1], v[17:18], v[0:1]
	v_add_f64_e32 v[2:3], v[19:20], v[2:3]
	s_wait_dscnt 0x0
	s_delay_alu instid0(VALU_DEP_2) | instskip(NEXT) | instid1(VALU_DEP_2)
	;; [unrolled: 9-line block ×4, first 2 shown]
	v_add_f64_e32 v[0:1], v[0:1], v[4:5]
	v_add_f64_e32 v[2:3], v[2:3], v[6:7]
	ds_load_b128 v[4:7], v23 offset:10240
	ds_load_b128 v[17:20], v23 offset:11264
	s_wait_dscnt 0x1
	v_add_f64_e32 v[27:28], v[0:1], v[4:5]
	v_add_f64_e32 v[29:30], v[2:3], v[6:7]
	ds_load_b128 v[4:7], v23 offset:12288
	ds_load_b128 v[31:34], v23 offset:13312
	s_wait_dscnt 0x2
	v_add_f64_e32 v[17:18], v[27:28], v[17:18]
	v_add_f64_e32 v[19:20], v[29:30], v[19:20]
	s_wait_dscnt 0x1
	s_delay_alu instid0(VALU_DEP_2) | instskip(NEXT) | instid1(VALU_DEP_2)
	v_add_f64_e32 v[35:36], v[17:18], v[4:5]
	v_add_f64_e32 v[37:38], v[19:20], v[6:7]
	ds_load_b128 v[4:7], v23 offset:14336
	ds_load_b128 v[39:42], v23 offset:15360
	s_wait_dscnt 0x2
	v_add_f64_e32 v[31:32], v[35:36], v[31:32]
	v_add_f64_e32 v[33:34], v[37:38], v[33:34]
	s_wait_dscnt 0x1
	s_delay_alu instid0(VALU_DEP_2) | instskip(NEXT) | instid1(VALU_DEP_2)
	v_add_f64_e32 v[43:44], v[31:32], v[4:5]
	v_add_f64_e32 v[45:46], v[33:34], v[6:7]
	ds_store_b128 v23, v[0:3]
	ds_store_b128 v23, v[27:30]
	;; [unrolled: 1-line block ×6, first 2 shown]
                                        ; implicit-def: $vgpr2_vgpr3
	s_wait_dscnt 0x6
	v_add_f64_e32 v[4:5], v[43:44], v[39:40]
	v_add_f64_e32 v[6:7], v[45:46], v[41:42]
	ds_store_b128 v23, v[4:7]
	s_and_saveexec_b32 s5, s3
	s_cbranch_execz .LBB7_33
; %bb.30:                               ;   in Loop: Header=BB7_6 Depth=1
	v_mul_f64_e32 v[0:1], s[10:11], v[6:7]
	v_mul_f64_e32 v[2:3], s[8:9], v[6:7]
	s_and_not1_b32 vcc_lo, exec_lo, s38
	s_delay_alu instid0(VALU_DEP_2) | instskip(NEXT) | instid1(VALU_DEP_2)
	v_fma_f64 v[0:1], s[8:9], v[4:5], -v[0:1]
	v_fma_f64 v[2:3], s[10:11], v[4:5], v[2:3]
	s_wait_alu 0xfffe
	s_cbranch_vccnz .LBB7_32
; %bb.31:                               ;   in Loop: Header=BB7_6 Depth=1
	v_lshlrev_b64_e32 v[4:5], 4, v[9:10]
	s_delay_alu instid0(VALU_DEP_1) | instskip(SKIP_1) | instid1(VALU_DEP_2)
	v_add_co_u32 v4, vcc_lo, v25, v4
	s_wait_alu 0xfffd
	v_add_co_ci_u32_e64 v5, null, v26, v5, vcc_lo
	flat_load_b128 v[4:7], v[4:5]
	s_wait_loadcnt_dscnt 0x0
	v_mul_f64_e32 v[17:18], s[18:19], v[6:7]
	v_mul_f64_e32 v[6:7], s[16:17], v[6:7]
	s_delay_alu instid0(VALU_DEP_2) | instskip(NEXT) | instid1(VALU_DEP_2)
	v_fma_f64 v[17:18], s[16:17], v[4:5], -v[17:18]
	v_fma_f64 v[4:5], s[18:19], v[4:5], v[6:7]
	s_delay_alu instid0(VALU_DEP_2) | instskip(NEXT) | instid1(VALU_DEP_2)
	v_add_f64_e32 v[0:1], v[0:1], v[17:18]
	v_add_f64_e32 v[2:3], v[2:3], v[4:5]
.LBB7_32:                               ;   in Loop: Header=BB7_6 Depth=1
	s_or_b32 s41, s40, exec_lo
.LBB7_33:                               ;   in Loop: Header=BB7_6 Depth=1
	s_wait_alu 0xfffe
	s_or_b32 exec_lo, exec_lo, s5
	s_delay_alu instid0(SALU_CYCLE_1)
	s_and_not1_b32 s5, s40, exec_lo
	s_and_b32 s40, s41, exec_lo
	s_wait_alu 0xfffe
	s_or_b32 s40, s5, s40
.LBB7_34:                               ;   in Loop: Header=BB7_6 Depth=1
	s_wait_alu 0xfffe
	s_or_b32 exec_lo, exec_lo, s4
	v_dual_mov_b32 v4, v9 :: v_dual_mov_b32 v5, v10
	s_and_saveexec_b32 s4, s40
	s_cbranch_execz .LBB7_5
.LBB7_35:                               ;   in Loop: Header=BB7_6 Depth=1
	s_delay_alu instid0(VALU_DEP_1) | instskip(NEXT) | instid1(VALU_DEP_1)
	v_lshlrev_b64_e32 v[4:5], 4, v[4:5]
	v_add_co_u32 v4, vcc_lo, v25, v4
	s_wait_alu 0xfffd
	s_delay_alu instid0(VALU_DEP_2)
	v_add_co_ci_u32_e64 v5, null, v26, v5, vcc_lo
	flat_store_b128 v[4:5], v[0:3]
	s_branch .LBB7_5
.LBB7_36:
	s_endpgm
	.section	.rodata,"a",@progbits
	.p2align	6, 0x0
	.amdhsa_kernel _ZL19rocblas_hpmv_kernelILi64ELi16E19rocblas_complex_numIdEPKPKS1_PKPS1_EvbiT1_T2_llSA_lllS9_T3_llli
		.amdhsa_group_segment_fixed_size 16384
		.amdhsa_private_segment_fixed_size 0
		.amdhsa_kernarg_size 132
		.amdhsa_user_sgpr_count 2
		.amdhsa_user_sgpr_dispatch_ptr 0
		.amdhsa_user_sgpr_queue_ptr 0
		.amdhsa_user_sgpr_kernarg_segment_ptr 1
		.amdhsa_user_sgpr_dispatch_id 0
		.amdhsa_user_sgpr_private_segment_size 0
		.amdhsa_wavefront_size32 1
		.amdhsa_uses_dynamic_stack 0
		.amdhsa_enable_private_segment 0
		.amdhsa_system_sgpr_workgroup_id_x 1
		.amdhsa_system_sgpr_workgroup_id_y 0
		.amdhsa_system_sgpr_workgroup_id_z 1
		.amdhsa_system_sgpr_workgroup_info 0
		.amdhsa_system_vgpr_workitem_id 1
		.amdhsa_next_free_vgpr 47
		.amdhsa_next_free_sgpr 44
		.amdhsa_reserve_vcc 1
		.amdhsa_float_round_mode_32 0
		.amdhsa_float_round_mode_16_64 0
		.amdhsa_float_denorm_mode_32 3
		.amdhsa_float_denorm_mode_16_64 3
		.amdhsa_fp16_overflow 0
		.amdhsa_workgroup_processor_mode 1
		.amdhsa_memory_ordered 1
		.amdhsa_forward_progress 1
		.amdhsa_inst_pref_size 16
		.amdhsa_round_robin_scheduling 0
		.amdhsa_exception_fp_ieee_invalid_op 0
		.amdhsa_exception_fp_denorm_src 0
		.amdhsa_exception_fp_ieee_div_zero 0
		.amdhsa_exception_fp_ieee_overflow 0
		.amdhsa_exception_fp_ieee_underflow 0
		.amdhsa_exception_fp_ieee_inexact 0
		.amdhsa_exception_int_div_zero 0
	.end_amdhsa_kernel
	.section	.text._ZL19rocblas_hpmv_kernelILi64ELi16E19rocblas_complex_numIdEPKPKS1_PKPS1_EvbiT1_T2_llSA_lllS9_T3_llli,"axG",@progbits,_ZL19rocblas_hpmv_kernelILi64ELi16E19rocblas_complex_numIdEPKPKS1_PKPS1_EvbiT1_T2_llSA_lllS9_T3_llli,comdat
.Lfunc_end7:
	.size	_ZL19rocblas_hpmv_kernelILi64ELi16E19rocblas_complex_numIdEPKPKS1_PKPS1_EvbiT1_T2_llSA_lllS9_T3_llli, .Lfunc_end7-_ZL19rocblas_hpmv_kernelILi64ELi16E19rocblas_complex_numIdEPKPKS1_PKPS1_EvbiT1_T2_llSA_lllS9_T3_llli
                                        ; -- End function
	.set _ZL19rocblas_hpmv_kernelILi64ELi16E19rocblas_complex_numIdEPKPKS1_PKPS1_EvbiT1_T2_llSA_lllS9_T3_llli.num_vgpr, 47
	.set _ZL19rocblas_hpmv_kernelILi64ELi16E19rocblas_complex_numIdEPKPKS1_PKPS1_EvbiT1_T2_llSA_lllS9_T3_llli.num_agpr, 0
	.set _ZL19rocblas_hpmv_kernelILi64ELi16E19rocblas_complex_numIdEPKPKS1_PKPS1_EvbiT1_T2_llSA_lllS9_T3_llli.numbered_sgpr, 44
	.set _ZL19rocblas_hpmv_kernelILi64ELi16E19rocblas_complex_numIdEPKPKS1_PKPS1_EvbiT1_T2_llSA_lllS9_T3_llli.num_named_barrier, 0
	.set _ZL19rocblas_hpmv_kernelILi64ELi16E19rocblas_complex_numIdEPKPKS1_PKPS1_EvbiT1_T2_llSA_lllS9_T3_llli.private_seg_size, 0
	.set _ZL19rocblas_hpmv_kernelILi64ELi16E19rocblas_complex_numIdEPKPKS1_PKPS1_EvbiT1_T2_llSA_lllS9_T3_llli.uses_vcc, 1
	.set _ZL19rocblas_hpmv_kernelILi64ELi16E19rocblas_complex_numIdEPKPKS1_PKPS1_EvbiT1_T2_llSA_lllS9_T3_llli.uses_flat_scratch, 0
	.set _ZL19rocblas_hpmv_kernelILi64ELi16E19rocblas_complex_numIdEPKPKS1_PKPS1_EvbiT1_T2_llSA_lllS9_T3_llli.has_dyn_sized_stack, 0
	.set _ZL19rocblas_hpmv_kernelILi64ELi16E19rocblas_complex_numIdEPKPKS1_PKPS1_EvbiT1_T2_llSA_lllS9_T3_llli.has_recursion, 0
	.set _ZL19rocblas_hpmv_kernelILi64ELi16E19rocblas_complex_numIdEPKPKS1_PKPS1_EvbiT1_T2_llSA_lllS9_T3_llli.has_indirect_call, 0
	.section	.AMDGPU.csdata,"",@progbits
; Kernel info:
; codeLenInByte = 2008
; TotalNumSgprs: 46
; NumVgprs: 47
; ScratchSize: 0
; MemoryBound: 0
; FloatMode: 240
; IeeeMode: 1
; LDSByteSize: 16384 bytes/workgroup (compile time only)
; SGPRBlocks: 0
; VGPRBlocks: 5
; NumSGPRsForWavesPerEU: 46
; NumVGPRsForWavesPerEU: 47
; Occupancy: 16
; WaveLimiterHint : 1
; COMPUTE_PGM_RSRC2:SCRATCH_EN: 0
; COMPUTE_PGM_RSRC2:USER_SGPR: 2
; COMPUTE_PGM_RSRC2:TRAP_HANDLER: 0
; COMPUTE_PGM_RSRC2:TGID_X_EN: 1
; COMPUTE_PGM_RSRC2:TGID_Y_EN: 0
; COMPUTE_PGM_RSRC2:TGID_Z_EN: 1
; COMPUTE_PGM_RSRC2:TIDIG_COMP_CNT: 1
	.section	.AMDGPU.gpr_maximums,"",@progbits
	.set amdgpu.max_num_vgpr, 0
	.set amdgpu.max_num_agpr, 0
	.set amdgpu.max_num_sgpr, 0
	.section	.AMDGPU.csdata,"",@progbits
	.type	__hip_cuid_edb47a332a8e8152,@object ; @__hip_cuid_edb47a332a8e8152
	.section	.bss,"aw",@nobits
	.globl	__hip_cuid_edb47a332a8e8152
__hip_cuid_edb47a332a8e8152:
	.byte	0                               ; 0x0
	.size	__hip_cuid_edb47a332a8e8152, 1

	.ident	"AMD clang version 22.0.0git (https://github.com/RadeonOpenCompute/llvm-project roc-7.2.4 26084 f58b06dce1f9c15707c5f808fd002e18c2accf7e)"
	.section	".note.GNU-stack","",@progbits
	.addrsig
	.addrsig_sym __hip_cuid_edb47a332a8e8152
	.amdgpu_metadata
---
amdhsa.kernels:
  - .args:
      - .offset:         0
        .size:           1
        .value_kind:     by_value
      - .offset:         4
        .size:           4
        .value_kind:     by_value
      - .address_space:  global
        .offset:         8
        .size:           8
        .value_kind:     global_buffer
      - .address_space:  global
        .offset:         16
        .size:           8
        .value_kind:     global_buffer
      - .offset:         24
        .size:           8
        .value_kind:     by_value
      - .offset:         32
        .size:           8
        .value_kind:     by_value
      - .address_space:  global
        .offset:         40
        .size:           8
        .value_kind:     global_buffer
      - .offset:         48
        .size:           8
        .value_kind:     by_value
      - .offset:         56
        .size:           8
        .value_kind:     by_value
      - .offset:         64
        .size:           8
        .value_kind:     by_value
      - .address_space:  global
        .offset:         72
        .size:           8
        .value_kind:     global_buffer
      - .address_space:  global
        .offset:         80
        .size:           8
        .value_kind:     global_buffer
      - .offset:         88
        .size:           8
        .value_kind:     by_value
      - .offset:         96
        .size:           8
        .value_kind:     by_value
      - .offset:         104
        .size:           8
        .value_kind:     by_value
      - .offset:         112
        .size:           4
        .value_kind:     by_value
    .group_segment_fixed_size: 8192
    .kernarg_segment_align: 8
    .kernarg_segment_size: 116
    .language:       OpenCL C
    .language_version:
      - 2
      - 0
    .max_flat_workgroup_size: 1024
    .name:           _ZL19rocblas_hpmv_kernelILi64ELi16EPK19rocblas_complex_numIfES3_PS1_EvbiT1_T2_llS6_lllS5_T3_llli
    .private_segment_fixed_size: 0
    .sgpr_count:     42
    .sgpr_spill_count: 0
    .symbol:         _ZL19rocblas_hpmv_kernelILi64ELi16EPK19rocblas_complex_numIfES3_PS1_EvbiT1_T2_llS6_lllS5_T3_llli.kd
    .uniform_work_group_size: 1
    .uses_dynamic_stack: false
    .vgpr_count:     26
    .vgpr_spill_count: 0
    .wavefront_size: 32
    .workgroup_processor_mode: 1
  - .args:
      - .offset:         0
        .size:           1
        .value_kind:     by_value
      - .offset:         4
        .size:           4
        .value_kind:     by_value
      - .offset:         8
        .size:           8
        .value_kind:     by_value
      - .address_space:  global
        .offset:         16
        .size:           8
        .value_kind:     global_buffer
      - .offset:         24
        .size:           8
        .value_kind:     by_value
      - .offset:         32
        .size:           8
        .value_kind:     by_value
      - .address_space:  global
        .offset:         40
        .size:           8
        .value_kind:     global_buffer
      - .offset:         48
        .size:           8
        .value_kind:     by_value
      - .offset:         56
        .size:           8
        .value_kind:     by_value
      - .offset:         64
        .size:           8
        .value_kind:     by_value
      - .offset:         72
        .size:           8
        .value_kind:     by_value
      - .address_space:  global
        .offset:         80
        .size:           8
        .value_kind:     global_buffer
      - .offset:         88
        .size:           8
        .value_kind:     by_value
      - .offset:         96
        .size:           8
        .value_kind:     by_value
      - .offset:         104
        .size:           8
        .value_kind:     by_value
      - .offset:         112
        .size:           4
        .value_kind:     by_value
    .group_segment_fixed_size: 8192
    .kernarg_segment_align: 8
    .kernarg_segment_size: 116
    .language:       OpenCL C
    .language_version:
      - 2
      - 0
    .max_flat_workgroup_size: 1024
    .name:           _ZL19rocblas_hpmv_kernelILi64ELi16E19rocblas_complex_numIfEPKS1_PS1_EvbiT1_T2_llS6_lllS5_T3_llli
    .private_segment_fixed_size: 0
    .sgpr_count:     42
    .sgpr_spill_count: 0
    .symbol:         _ZL19rocblas_hpmv_kernelILi64ELi16E19rocblas_complex_numIfEPKS1_PS1_EvbiT1_T2_llS6_lllS5_T3_llli.kd
    .uniform_work_group_size: 1
    .uses_dynamic_stack: false
    .vgpr_count:     26
    .vgpr_spill_count: 0
    .wavefront_size: 32
    .workgroup_processor_mode: 1
  - .args:
      - .offset:         0
        .size:           1
        .value_kind:     by_value
      - .offset:         4
        .size:           4
        .value_kind:     by_value
      - .address_space:  global
        .offset:         8
        .size:           8
        .value_kind:     global_buffer
      - .address_space:  global
        .offset:         16
        .size:           8
        .value_kind:     global_buffer
      - .offset:         24
        .size:           8
        .value_kind:     by_value
      - .offset:         32
        .size:           8
        .value_kind:     by_value
      - .address_space:  global
        .offset:         40
        .size:           8
        .value_kind:     global_buffer
      - .offset:         48
        .size:           8
        .value_kind:     by_value
      - .offset:         56
        .size:           8
        .value_kind:     by_value
      - .offset:         64
        .size:           8
        .value_kind:     by_value
      - .address_space:  global
        .offset:         72
        .size:           8
        .value_kind:     global_buffer
      - .address_space:  global
        .offset:         80
        .size:           8
        .value_kind:     global_buffer
      - .offset:         88
        .size:           8
        .value_kind:     by_value
      - .offset:         96
        .size:           8
        .value_kind:     by_value
      - .offset:         104
        .size:           8
        .value_kind:     by_value
      - .offset:         112
        .size:           4
        .value_kind:     by_value
    .group_segment_fixed_size: 16384
    .kernarg_segment_align: 8
    .kernarg_segment_size: 116
    .language:       OpenCL C
    .language_version:
      - 2
      - 0
    .max_flat_workgroup_size: 1024
    .name:           _ZL19rocblas_hpmv_kernelILi64ELi16EPK19rocblas_complex_numIdES3_PS1_EvbiT1_T2_llS6_lllS5_T3_llli
    .private_segment_fixed_size: 0
    .sgpr_count:     47
    .sgpr_spill_count: 0
    .symbol:         _ZL19rocblas_hpmv_kernelILi64ELi16EPK19rocblas_complex_numIdES3_PS1_EvbiT1_T2_llS6_lllS5_T3_llli.kd
    .uniform_work_group_size: 1
    .uses_dynamic_stack: false
    .vgpr_count:     46
    .vgpr_spill_count: 0
    .wavefront_size: 32
    .workgroup_processor_mode: 1
  - .args:
      - .offset:         0
        .size:           1
        .value_kind:     by_value
      - .offset:         4
        .size:           4
        .value_kind:     by_value
      - .offset:         8
        .size:           16
        .value_kind:     by_value
      - .address_space:  global
        .offset:         24
        .size:           8
        .value_kind:     global_buffer
      - .offset:         32
        .size:           8
        .value_kind:     by_value
      - .offset:         40
        .size:           8
        .value_kind:     by_value
      - .address_space:  global
        .offset:         48
        .size:           8
        .value_kind:     global_buffer
      - .offset:         56
        .size:           8
        .value_kind:     by_value
      - .offset:         64
        .size:           8
        .value_kind:     by_value
      - .offset:         72
        .size:           8
        .value_kind:     by_value
      - .offset:         80
        .size:           16
        .value_kind:     by_value
      - .address_space:  global
        .offset:         96
        .size:           8
        .value_kind:     global_buffer
      - .offset:         104
        .size:           8
        .value_kind:     by_value
      - .offset:         112
        .size:           8
        .value_kind:     by_value
      - .offset:         120
        .size:           8
        .value_kind:     by_value
      - .offset:         128
        .size:           4
        .value_kind:     by_value
    .group_segment_fixed_size: 16384
    .kernarg_segment_align: 8
    .kernarg_segment_size: 132
    .language:       OpenCL C
    .language_version:
      - 2
      - 0
    .max_flat_workgroup_size: 1024
    .name:           _ZL19rocblas_hpmv_kernelILi64ELi16E19rocblas_complex_numIdEPKS1_PS1_EvbiT1_T2_llS6_lllS5_T3_llli
    .private_segment_fixed_size: 0
    .sgpr_count:     47
    .sgpr_spill_count: 0
    .symbol:         _ZL19rocblas_hpmv_kernelILi64ELi16E19rocblas_complex_numIdEPKS1_PS1_EvbiT1_T2_llS6_lllS5_T3_llli.kd
    .uniform_work_group_size: 1
    .uses_dynamic_stack: false
    .vgpr_count:     46
    .vgpr_spill_count: 0
    .wavefront_size: 32
    .workgroup_processor_mode: 1
  - .args:
      - .offset:         0
        .size:           1
        .value_kind:     by_value
      - .offset:         4
        .size:           4
        .value_kind:     by_value
      - .address_space:  global
        .offset:         8
        .size:           8
        .value_kind:     global_buffer
      - .address_space:  global
        .offset:         16
        .size:           8
        .value_kind:     global_buffer
      - .offset:         24
        .size:           8
        .value_kind:     by_value
      - .offset:         32
        .size:           8
        .value_kind:     by_value
      - .address_space:  global
        .offset:         40
        .size:           8
        .value_kind:     global_buffer
      - .offset:         48
        .size:           8
        .value_kind:     by_value
      - .offset:         56
        .size:           8
        .value_kind:     by_value
      - .offset:         64
        .size:           8
        .value_kind:     by_value
      - .address_space:  global
        .offset:         72
        .size:           8
        .value_kind:     global_buffer
      - .address_space:  global
        .offset:         80
        .size:           8
        .value_kind:     global_buffer
      - .offset:         88
        .size:           8
        .value_kind:     by_value
      - .offset:         96
        .size:           8
        .value_kind:     by_value
      - .offset:         104
        .size:           8
        .value_kind:     by_value
      - .offset:         112
        .size:           4
        .value_kind:     by_value
    .group_segment_fixed_size: 8192
    .kernarg_segment_align: 8
    .kernarg_segment_size: 116
    .language:       OpenCL C
    .language_version:
      - 2
      - 0
    .max_flat_workgroup_size: 1024
    .name:           _ZL19rocblas_hpmv_kernelILi64ELi16EPK19rocblas_complex_numIfEPKS3_PKPS1_EvbiT1_T2_llSA_lllS9_T3_llli
    .private_segment_fixed_size: 0
    .sgpr_count:     41
    .sgpr_spill_count: 0
    .symbol:         _ZL19rocblas_hpmv_kernelILi64ELi16EPK19rocblas_complex_numIfEPKS3_PKPS1_EvbiT1_T2_llSA_lllS9_T3_llli.kd
    .uniform_work_group_size: 1
    .uses_dynamic_stack: false
    .vgpr_count:     29
    .vgpr_spill_count: 0
    .wavefront_size: 32
    .workgroup_processor_mode: 1
  - .args:
      - .offset:         0
        .size:           1
        .value_kind:     by_value
      - .offset:         4
        .size:           4
        .value_kind:     by_value
      - .offset:         8
        .size:           8
        .value_kind:     by_value
      - .address_space:  global
        .offset:         16
        .size:           8
        .value_kind:     global_buffer
      - .offset:         24
        .size:           8
        .value_kind:     by_value
      - .offset:         32
        .size:           8
        .value_kind:     by_value
      - .address_space:  global
        .offset:         40
        .size:           8
        .value_kind:     global_buffer
      - .offset:         48
        .size:           8
        .value_kind:     by_value
      - .offset:         56
        .size:           8
        .value_kind:     by_value
      - .offset:         64
        .size:           8
        .value_kind:     by_value
      - .offset:         72
        .size:           8
        .value_kind:     by_value
      - .address_space:  global
        .offset:         80
        .size:           8
        .value_kind:     global_buffer
      - .offset:         88
        .size:           8
        .value_kind:     by_value
      - .offset:         96
        .size:           8
        .value_kind:     by_value
      - .offset:         104
        .size:           8
        .value_kind:     by_value
      - .offset:         112
        .size:           4
        .value_kind:     by_value
    .group_segment_fixed_size: 8192
    .kernarg_segment_align: 8
    .kernarg_segment_size: 116
    .language:       OpenCL C
    .language_version:
      - 2
      - 0
    .max_flat_workgroup_size: 1024
    .name:           _ZL19rocblas_hpmv_kernelILi64ELi16E19rocblas_complex_numIfEPKPKS1_PKPS1_EvbiT1_T2_llSA_lllS9_T3_llli
    .private_segment_fixed_size: 0
    .sgpr_count:     41
    .sgpr_spill_count: 0
    .symbol:         _ZL19rocblas_hpmv_kernelILi64ELi16E19rocblas_complex_numIfEPKPKS1_PKPS1_EvbiT1_T2_llSA_lllS9_T3_llli.kd
    .uniform_work_group_size: 1
    .uses_dynamic_stack: false
    .vgpr_count:     29
    .vgpr_spill_count: 0
    .wavefront_size: 32
    .workgroup_processor_mode: 1
  - .args:
      - .offset:         0
        .size:           1
        .value_kind:     by_value
      - .offset:         4
        .size:           4
        .value_kind:     by_value
      - .address_space:  global
        .offset:         8
        .size:           8
        .value_kind:     global_buffer
      - .address_space:  global
        .offset:         16
        .size:           8
        .value_kind:     global_buffer
      - .offset:         24
        .size:           8
        .value_kind:     by_value
      - .offset:         32
        .size:           8
        .value_kind:     by_value
      - .address_space:  global
        .offset:         40
        .size:           8
        .value_kind:     global_buffer
      - .offset:         48
        .size:           8
        .value_kind:     by_value
      - .offset:         56
        .size:           8
        .value_kind:     by_value
      - .offset:         64
        .size:           8
        .value_kind:     by_value
      - .address_space:  global
        .offset:         72
        .size:           8
        .value_kind:     global_buffer
      - .address_space:  global
        .offset:         80
        .size:           8
        .value_kind:     global_buffer
      - .offset:         88
        .size:           8
        .value_kind:     by_value
      - .offset:         96
        .size:           8
        .value_kind:     by_value
      - .offset:         104
        .size:           8
        .value_kind:     by_value
      - .offset:         112
        .size:           4
        .value_kind:     by_value
    .group_segment_fixed_size: 16384
    .kernarg_segment_align: 8
    .kernarg_segment_size: 116
    .language:       OpenCL C
    .language_version:
      - 2
      - 0
    .max_flat_workgroup_size: 1024
    .name:           _ZL19rocblas_hpmv_kernelILi64ELi16EPK19rocblas_complex_numIdEPKS3_PKPS1_EvbiT1_T2_llSA_lllS9_T3_llli
    .private_segment_fixed_size: 0
    .sgpr_count:     46
    .sgpr_spill_count: 0
    .symbol:         _ZL19rocblas_hpmv_kernelILi64ELi16EPK19rocblas_complex_numIdEPKS3_PKPS1_EvbiT1_T2_llSA_lllS9_T3_llli.kd
    .uniform_work_group_size: 1
    .uses_dynamic_stack: false
    .vgpr_count:     47
    .vgpr_spill_count: 0
    .wavefront_size: 32
    .workgroup_processor_mode: 1
  - .args:
      - .offset:         0
        .size:           1
        .value_kind:     by_value
      - .offset:         4
        .size:           4
        .value_kind:     by_value
      - .offset:         8
        .size:           16
        .value_kind:     by_value
      - .address_space:  global
        .offset:         24
        .size:           8
        .value_kind:     global_buffer
      - .offset:         32
        .size:           8
        .value_kind:     by_value
      - .offset:         40
        .size:           8
        .value_kind:     by_value
      - .address_space:  global
        .offset:         48
        .size:           8
        .value_kind:     global_buffer
      - .offset:         56
        .size:           8
        .value_kind:     by_value
      - .offset:         64
        .size:           8
        .value_kind:     by_value
      - .offset:         72
        .size:           8
        .value_kind:     by_value
      - .offset:         80
        .size:           16
        .value_kind:     by_value
      - .address_space:  global
        .offset:         96
        .size:           8
        .value_kind:     global_buffer
      - .offset:         104
        .size:           8
        .value_kind:     by_value
      - .offset:         112
        .size:           8
        .value_kind:     by_value
      - .offset:         120
        .size:           8
        .value_kind:     by_value
      - .offset:         128
        .size:           4
        .value_kind:     by_value
    .group_segment_fixed_size: 16384
    .kernarg_segment_align: 8
    .kernarg_segment_size: 132
    .language:       OpenCL C
    .language_version:
      - 2
      - 0
    .max_flat_workgroup_size: 1024
    .name:           _ZL19rocblas_hpmv_kernelILi64ELi16E19rocblas_complex_numIdEPKPKS1_PKPS1_EvbiT1_T2_llSA_lllS9_T3_llli
    .private_segment_fixed_size: 0
    .sgpr_count:     46
    .sgpr_spill_count: 0
    .symbol:         _ZL19rocblas_hpmv_kernelILi64ELi16E19rocblas_complex_numIdEPKPKS1_PKPS1_EvbiT1_T2_llSA_lllS9_T3_llli.kd
    .uniform_work_group_size: 1
    .uses_dynamic_stack: false
    .vgpr_count:     47
    .vgpr_spill_count: 0
    .wavefront_size: 32
    .workgroup_processor_mode: 1
amdhsa.target:   amdgcn-amd-amdhsa--gfx1201
amdhsa.version:
  - 1
  - 2
...

	.end_amdgpu_metadata
